;; amdgpu-corpus repo=ROCm/rocm-libraries kind=harvested arch=n/a opt=n/a

/******************************************/
/* Begin Kernel                           */
/******************************************/
.amdgcn_target "amdgcn-amd-amdhsa--gfx942"
.text
.protected Custom_Cijk_Ailk_Bljk_F8NH_HSS_BH_Bias_GG_AS_SAB_SAV_UserArgs_shortname9_gfx942
.globl Custom_Cijk_Ailk_Bljk_F8NH_HSS_BH_Bias_GG_AS_SAB_SAV_UserArgs_shortname9_gfx942
.p2align 8
.type Custom_Cijk_Ailk_Bljk_F8NH_HSS_BH_Bias_GG_AS_SAB_SAV_UserArgs_shortname9_gfx942,@function
.section .rodata,#alloc
.p2align 6
.amdhsa_kernel Custom_Cijk_Ailk_Bljk_F8NH_HSS_BH_Bias_GG_AS_SAB_SAV_UserArgs_shortname9_gfx942
  .amdhsa_user_sgpr_kernarg_segment_ptr 1
  .amdhsa_accum_offset 256 // accvgpr offset
  .amdhsa_next_free_vgpr 512 // vgprs
  .amdhsa_next_free_sgpr 102 // sgprs
  .amdhsa_group_segment_fixed_size 65536 // lds bytes
  .amdhsa_private_segment_fixed_size 0
  .amdhsa_system_sgpr_workgroup_id_x 1
  .amdhsa_system_sgpr_workgroup_id_y 1
  .amdhsa_system_sgpr_workgroup_id_z 1
  .amdhsa_system_vgpr_workitem_id 0
  .amdhsa_float_denorm_mode_32 3
  .amdhsa_float_denorm_mode_16_64 3
  .amdhsa_user_sgpr_count 13
  .amdhsa_user_sgpr_kernarg_preload_length 11
  .amdhsa_user_sgpr_kernarg_preload_offset 0
.end_amdhsa_kernel
.text
/* Num VGPR   =256 */
/* Num AccVGPR=256 */
/* Num SGPR   =81 */

/******************************************/
/* Optimizations and Config:              */
/******************************************/
/* ThreadTile= 16 x 16 */
/* SubGroup= 16 x 16 */
/* VectorWidthA=4 */
/* VectorWidthB=1 */
/* GlobalReadVectorWidthA=4, GlobalReadVectorWidthB=4 */
/* DirectToLdsA=False */
/* DirectToLdsB=False */
/* UseSgprForGRO=False */
.amdgpu_metadata
---
custom.config:
   ProblemType:
      OperationType: GEMM
      DataTypeA: f8n
      DataTypeB: h
      UseScaleAB: "Scalar"
      DataType: h
      DestDataType: s
      ComputeDataType: s
      HighPrecisionAccumulate: True
      TransposeA: False
      TransposeB: False
      UseBias: 1
      Activation: True
      UseScaleAlphaVec: 1
      UseBeta: True
      Batched: True
      GroupedGemm:   True
      SupportUserArgs: True
   EnableF32XdlMathOp: False
   EnableMatrixInstruction: True
   MFMA_BF16_1K: False
   MIBlock: [16, 16, 16, 1, 1, 1]
   MIInputPerThread: 4
   MIInputPerThreadA: 4
   MIInputPerThreadB: 4
   MIInputPerThreadMetadata: 4
   MIWaveGroup: [4, 1]
   MIWaveTile: [4, 16]
   MatrixInstB: 1
   MatrixInstBM: 1
   MatrixInstBN: 1
   MatrixInstK: 16
   MatrixInstM: 16
   MatrixInstN: 16
   MatrixInstruction: [16, 16, 16, 1]
   Sparse: 0
   ThreadTile: [1, 1]
   WavefrontSize: 64
   WorkGroup: [64, 4, 1]
   1LDSBuffer: 1
   ScheduleIterAlg: 3
   DepthU: 32
   StaggerU: 0
   WorkGroupMapping: 1
   WaveSeparateGlobalReadA: 1
   WaveSeparateGlobalReadB: 1
   GlobalReadVectorWidthA: 4
   GlobalReadVectorWidthB: 4
   AssertFree0ElementMultiple: 1
   AssertSummationElementMultiple: 64
   InternalSupportParams:
      KernArgsVersion: 0
      SupportUserGSU: False
      SupportCustomWGM: False
      SupportCustomStaggerU: False
      UseUniversalArgs: False
amdhsa.version:
  - 1
  - 1
amdhsa.kernels:
  - .name: Custom_Cijk_Ailk_Bljk_F8NH_HSS_BH_Bias_GG_AS_SAB_SAV_UserArgs_shortname9_gfx942
    .symbol: 'Custom_Cijk_Ailk_Bljk_F8NH_HSS_BH_Bias_GG_AS_SAB_SAV_UserArgs_shortname9_gfx942.kd'
    .language:                   OpenCL C
    .language_version:
      - 2
      - 0
    .args:
      - .name:            SizesFree0
        .size:            4
        .offset:          0
        .value_kind:      by_value
        .value_type:      u32
      - .name:            SizesFree1
        .size:            4
        .offset:          4
        .value_kind:      by_value
        .value_type:      u32
      - .name:            SizesFree2
        .size:            4
        .offset:          8
        .value_kind:      by_value
        .value_type:      u32
      - .name:            SizesSum0
        .size:            4
        .offset:          12
        .value_kind:      by_value
        .value_type:      u32
      - .name:            D
        .size:            8
        .offset:          16
        .value_kind:      global_buffer
        .value_type:      f32
        .address_space:   generic
      - .name:            C
        .size:            8
        .offset:          24
        .value_kind:      global_buffer
        .value_type:      f32
        .address_space:   generic
      - .name:            A
        .size:            8
        .offset:          32
        .value_kind:      global_buffer
        .value_type:      f16
        .address_space:   generic
      - .name:            B
        .size:            8
        .offset:          40
        .value_kind:      global_buffer
        .value_type:      f16
        .address_space:   generic
      - .name:            strideD0
        .size:            4
        .offset:          48
        .value_kind:      by_value
        .value_type:      u32
      - .name:            strideD1
        .size:            4
        .offset:          52
        .value_kind:      by_value
        .value_type:      u32
      - .name:            strideC0
        .size:            4
        .offset:          56
        .value_kind:      by_value
        .value_type:      u32
      - .name:            strideC1
        .size:            4
        .offset:          60
        .value_kind:      by_value
        .value_type:      u32
      - .name:            strideA0
        .size:            4
        .offset:          64
        .value_kind:      by_value
        .value_type:      u32
      - .name:            strideA1
        .size:            4
        .offset:          68
        .value_kind:      by_value
        .value_type:      u32
      - .name:            strideB0
        .size:            4
        .offset:          72
        .value_kind:      by_value
        .value_type:      u32
      - .name:            strideB1
        .size:            4
        .offset:          76
        .value_kind:      by_value
        .value_type:      u32
      - .name:            alpha
        .size:            4
        .offset:          80
        .value_kind:      by_value
        .value_type:      f32
      - .name:            beta
        .size:            4
        .offset:          84
        .value_kind:      by_value
        .value_type:      f32
      - .name:            AddressScaleA
        .size:            8
        .offset:          88
        .value_kind:      global_buffer
        .value_type:      f32
        .address_space:   generic
      - .name:            AddressScaleB
        .size:            8
        .offset:          96
        .value_kind:      global_buffer
        .value_type:      f32
        .address_space:   generic
      - .name:            AddressScaleAlphaVec
        .size:            8
        .offset:          104
        .value_kind:      global_buffer
        .value_type:      f32
        .address_space:   generic
      - .name:            bias
        .size:            8
        .offset:          112
        .value_kind:      global_buffer
        .value_type:      void
        .address_space:   generic
      - .name:            biasType
        .size:            4
        .offset:          120
        .value_kind:      by_value
        .value_type:      u32
      - .name:            StrideBias
        .size:            4
        .offset:          124
        .value_kind:      by_value
        .value_type:      u32
      - .name:            activationAlpha
        .size:            4
        .offset:          128
        .value_kind:      by_value
        .value_type:      f32
      - .name:            activationBeta
        .size:            4
        .offset:          132
        .value_kind:      by_value
        .value_type:      f32
      - .name:            activationType
        .size:            4
        .offset:          136
        .value_kind:      by_value
        .value_type:      u32
    .group_segment_fixed_size:   33792
    .kernarg_segment_align:      8
    .kernarg_segment_size:       144
    .max_flat_workgroup_size:    256
    .private_segment_fixed_size: 0
    .sgpr_count:                 81
    .sgpr_spill_count:           0
    .vgpr_count:                 256
    .vgpr_spill_count:           0
    .wavefront_size:             64
...
.end_amdgpu_metadata
Custom_Cijk_Ailk_Bljk_F8NH_HSS_BH_Bias_GG_AS_SAB_SAV_UserArgs_shortname9_gfx942:
.long 0xC00206C0, 0x00000000
.long 0xC0020B80, 0x00000018
	;; [unrolled: 1-line block ×4, first 2 shown]
.long 0xBF8CC07F
.long 0xBF82003D
	;; [unrolled: 1-line block ×63, first 2 shown]
.long 0xBEBC00FF, 0x05040100
.long 0xBEBD00FF, 0x07060302
	;; [unrolled: 1-line block ×3, first 2 shown]
.long 0x7F060300
.long 0xBE82000D
	;; [unrolled: 1-line block ×6, first 2 shown]
.long 0xBE9A00FF, 0x0000008C
.long 0x9216841B
.long 0xBE900100
.long 0xBF820004
.long 0xBE9A00FF, 0x000000C4
.long 0xBE960080
.long 0xBE900106
.long 0xBE980081
.long 0xBE970080
.long 0xC0080308, 0x00000016
.long 0xB41B0001
	;; [unrolled: 5-line block ×3, first 2 shown]
.long 0x8F15880D
.long 0x86120DFF, 0x000000FF
.long 0x82158015
.long 0x92141514
	;; [unrolled: 1-line block ×8, first 2 shown]
.long 0xC0080308, 0x00000016
.long 0x80188118
.long 0xBF0A1B18
.long 0xBF85FFEB
.long 0xBF8CC07F
.long 0x8F14880C
.long 0x86120CFF, 0x000000FF
.long 0x82148014
.long 0x8F15880D
.long 0x86120DFF, 0x000000FF
.long 0x82158015
.long 0x92141514
.long 0x92140E14
.long 0x92142E14
.long 0x80171417
.long 0x808B8118
.long 0x80881417
.long 0x80820802
.long 0xBF128006
.long 0xBF84000D
.long 0x9780001B
.long 0x82018001
.long 0x920BFF0B, 0x0000008C
.long 0x80000B00
.long 0x82018001
.long 0xC0120600, 0x00000000
.long 0xC00A0A00, 0x00000040
	;; [unrolled: 1-line block ×3, first 2 shown]
.long 0xBF82000C
.long 0x920BFF0B, 0x000000C4
.long 0x80060B06
.long 0x82078007
.long 0xC0120603, 0x00000000
.long 0xC00A0A03, 0x00000040
	;; [unrolled: 1-line block ×4, first 2 shown]
.long 0x260306BF
.long 0x2600028F
	;; [unrolled: 1-line block ×27, first 2 shown]
.long 0xBE8F00FF, 0x00000100
.long 0xD2850000, 0x0002000F
.long 0xD1FE0082, 0x02060300
.long 0x20050487
.long 0x24040483
.long 0x69050502
.long 0x330504FF, 0x00004000
.long 0x260906BF
.long 0x20020886
.long 0x260008BF
.long 0x7E1E0583
.long 0x8F0F860F
.long 0x920F880F
.long 0x6802020F
.long 0x24000082
.long 0x7E080301
.long 0x260B06BF
.long 0x20040A83
.long 0x26060A87
.long 0x7E1E0583
.long 0x8F0F860F
.long 0x920FC00F
.long 0x6804040F
.long 0x24060682
.long 0x7E0A0303
.long 0x10A008FF, 0x00000100
.long 0xD1FE0050, 0x0206A100
.long 0x10A204A0
.long 0xD1FE0051, 0x0206A305
.long 0x200CA287
.long 0x240C0C83
	;; [unrolled: 1-line block ×3, first 2 shown]
.long 0x32A2A2FF, 0x00004000
.long 0xBF8CC07F
.long 0x7E1002FF, 0x00000100
.long 0x7E0E0218
.long 0x7E0C0D08
	;; [unrolled: 1-line block ×8, first 2 shown]
.long 0xD0CD006A, 0x00010109
.long 0xD11C6A06, 0x01A90106
.long 0x7E1002FF, 0x00000100
.long 0x7E0E0219
.long 0x7E1A0506
	;; [unrolled: 1-line block ×9, first 2 shown]
.long 0xD0CD006A, 0x00010109
.long 0xD11C6A06, 0x01A90106
.long 0xBF800000
.long 0x7E1C0506
	;; [unrolled: 1-line block ×12, first 2 shown]
.long 0xD1080007, 0x00007D06
.long 0x6A0E0E02
.long 0xD0DA007E, 0x00007D07
.long 0x680C0C81
.long 0xBEFE01C1
	;; [unrolled: 1-line block ×13, first 2 shown]
.long 0xD1080007, 0x00001B06
.long 0x6A0E0E02
.long 0xD0DA007E, 0x00001B07
.long 0x680C0C81
.long 0xBEFE01C1
	;; [unrolled: 1-line block ×13, first 2 shown]
.long 0xD042006A, 0x0001002C
.long 0xBF860001
.long 0xBE9B0080
	;; [unrolled: 1-line block ×9, first 2 shown]
.long 0xD1080007, 0x00005D06
.long 0x6A0E0E03
.long 0xD0DA007E, 0x00005D07
.long 0x680C0C81
.long 0x7E0E0280
	;; [unrolled: 1-line block ×20, first 2 shown]
.long 0x923EFF02, 0x00000100
.long 0x80BE3E18
.long 0x80BE843E
	;; [unrolled: 1-line block ×13, first 2 shown]
.long 0xD285000F, 0x00021E84
.long 0xD285000F, 0x00021E28
.long 0x6800010F
.long 0x201F0686
.long 0x261E1E83
.long 0x241E1E86
.long 0x6800010F
.long 0xD2850052, 0x00010028
.long 0xD2850053, 0x00010228
	;; [unrolled: 1-line block ×16, first 2 shown]
.long 0x68A4A484
.long 0x68A6A684
	;; [unrolled: 1-line block ×8, first 2 shown]
.long 0xD285000F, 0x00020E2A
.long 0x32B41F17
.long 0x68B4B484
.long 0x24B4B481
.long 0xD285000F, 0x0002102A
.long 0x32B61F17
.long 0x68B6B684
.long 0x24B6B681
	;; [unrolled: 4-line block ×8, first 2 shown]
.long 0x9641FF02, 0x00000100
.long 0x9240FF02, 0x00000100
.long 0x963F08A0
.long 0x923E08A0
	;; [unrolled: 1-line block ×30, first 2 shown]
.long 0xBEB300FF, 0x00020000
.long 0x9641FF03, 0x00000100
	;; [unrolled: 1-line block ×3, first 2 shown]
.long 0x96412A40
.long 0x92402A40
	;; [unrolled: 1-line block ×32, first 2 shown]
.long 0xBEB700FF, 0x00020000
.long 0x923EA02E
.long 0x920F283E
	;; [unrolled: 1-line block ×12, first 2 shown]
.long 0xD1080001, 0x00005D00
.long 0x6A02020B
.long 0xD0DA007E, 0x00005D01
.long 0x68000081
.long 0x7E020280
	;; [unrolled: 1-line block ×11, first 2 shown]
.long 0xE0501000, 0x800C6252
.long 0xE0501000, 0x800C6453
	;; [unrolled: 1-line block ×16, first 2 shown]
.long 0x80300F30
.long 0x82318031
	;; [unrolled: 1-line block ×14, first 2 shown]
.long 0xBE9200FF, 0x80000000
.long 0xBE9300FF, 0x00020000
.long 0xBE94001E
.long 0xBE95001F
.long 0xBE9600FF, 0x80000000
.long 0xBE9700FF, 0x00020000
	;; [unrolled: 1-line block ×3, first 2 shown]
.long 0x963F2640
.long 0x923E2640
.long 0x8EBE053E
.long 0x80143E1E
.long 0x82153F1F
.long 0x963F2440
.long 0x923E2440
.long 0x8EBE0A3E
.long 0x80103E1C
.long 0x82113F1D
.long 0x963F2704
.long 0x923E2704
.long 0x8EBE053E
.long 0x80143E14
.long 0x82153F15
.long 0x963F2504
.long 0x923E2504
.long 0x8EBE0A3E
.long 0x80103E10
.long 0x82113F11
.long 0xBF06812E
.long 0xBF850011
.long 0x963F0818
.long 0x923E0818
.long 0x80C28119
.long 0x92420842
.long 0x96412642
.long 0x92402642
.long 0x803E403E
.long 0x823F413F
.long 0x80C2811A
.long 0x92420842
.long 0x96412742
.long 0x92402742
.long 0x803E403E
.long 0x823F413F
.long 0x8EBE823E
.long 0x80103E10
.long 0x82113F11
.long 0xD3D94000, 0x18000080
.long 0xD3D94001, 0x18000080
	;; [unrolled: 1-line block ×256, first 2 shown]
.long 0xBF06800B
.long 0xBF840006
	;; [unrolled: 1-line block ×3, first 2 shown]
.long 0x814084FF, 0x00001EE0
.long 0x803E403E
.long 0x823F803F
	;; [unrolled: 1-line block ×12, first 2 shown]
.long 0xD89A0000, 0x00007251
.long 0xD89A0220, 0x00007451
	;; [unrolled: 1-line block ×8, first 2 shown]
.long 0xBF06810B
.long 0xBF850020
.long 0xE0541000, 0x800D625A
.long 0xE0541000, 0x800D645B
.long 0xE0541000, 0x800D665C
.long 0xE0541000, 0x800D685D
.long 0xE0541000, 0x800D6A5E
.long 0xE0541000, 0x800D6C5F
.long 0xE0541000, 0x800D6E60
.long 0xE0541000, 0x800D7061
.long 0xE0501000, 0x800C7252
.long 0xE0501000, 0x800C7453
.long 0xE0501000, 0x800C7654
.long 0xE0501000, 0x800C7855
.long 0xE0501000, 0x800C7A56
.long 0xE0501000, 0x800C7C57
.long 0xE0501000, 0x800C7E58
.long 0xE0501000, 0x800C8059
.long 0xBF8CC07F
.long 0xBF8A0000
.long 0x7F18ACF9, 0x00040684
.long 0x7E0014F9, 0x0006148C
	;; [unrolled: 1-line block ×40, first 2 shown]
.long 0xBF06810B
.long 0xBF8505D1
.long 0xBF0B820B
.long 0xBF8503F6
.long 0xBF8CC07F
.long 0xD3CD8000, 0x04020110
.long 0xD8EC0020, 0x30000082
.long 0x80300F30
.long 0xD3CD8004, 0x04120510
.long 0xD8EC0460, 0x32000082
.long 0x82318031
	;; [unrolled: 3-line block ×12, first 2 shown]
.long 0xD3CD8030, 0x04C20116
.long 0xD8EC3320, 0x48000082
	;; [unrolled: 1-line block ×41, first 2 shown]
.long 0xBF8CC07F
.long 0xBF8A0000
.long 0xD3CD8064, 0x0592051C
.long 0xBF8C0F7F
.long 0xD89A0000, 0x00006251
.long 0xD3CD8068, 0x05A2091C
.long 0xE0501000, 0x800C6252
.long 0xD3CD806C, 0x05B20D1C
.long 0xD3CD8070, 0x05C2011E
.long 0xD3CD8074, 0x05D2051E
.long 0xBF8C0F7F
.long 0xD89A0220, 0x00006451
.long 0xD3CD8078, 0x05E2091E
.long 0xE0501000, 0x800C6453
.long 0xD3CD807C, 0x05F20D1E
.long 0xD3CD8080, 0x06020120
.long 0xD3CD8084, 0x06120520
.long 0xD3CD8088, 0x06220920
.long 0xBF8C0F7F
.long 0xD89A0440, 0x00006651
	;; [unrolled: 8-line block ×4, first 2 shown]
.long 0xD3CD80B4, 0x06D20526
.long 0xE0501000, 0x800C6A56
.long 0xD3CD80B8, 0x06E20926
.long 0xD3CD80BC, 0x06F20D26
.long 0xD3CD80C0, 0x07020128
.long 0xBF8C0F7F
.long 0xD89A0AA0, 0x00006C51
.long 0xD3CD80C4, 0x07120528
.long 0xE0501000, 0x800C6C57
.long 0xD3CD80C8, 0x07220928
.long 0xD3CD80CC, 0x07320D28
.long 0xD3CD80D0, 0x0742012A
.long 0xD3CD80D4, 0x0752052A
.long 0xBF8C0F7F
.long 0xD89A0CC0, 0x00006E51
.long 0xD3CD80D8, 0x0762092A
	;; [unrolled: 8-line block ×3, first 2 shown]
.long 0xE0501000, 0x800C7059
.long 0xD3CD80F0, 0x07C2012E
	;; [unrolled: 1-line block ×5, first 2 shown]
.long 0xBF8C0F7F
.long 0x7F080372
.long 0xD3CD8000, 0x04021130
.long 0xE0541000, 0x800D725A
.long 0xD3CD8004, 0x04121530
.long 0xD3CD8008, 0x04221930
.long 0xD3CD800C, 0x04321D30
.long 0xBF8C0F7F
.long 0x7F0A0374
.long 0xD3CD8010, 0x04421132
.long 0xE0541000, 0x800D745B
.long 0xD3CD8014, 0x04521532
.long 0xD3CD8018, 0x04621932
.long 0xD3CD801C, 0x04721D32
.long 0xD3CD8020, 0x04821134
.long 0xBF8C0F7F
.long 0x7F0C0376
.long 0xD3CD8024, 0x04921534
	;; [unrolled: 8-line block ×4, first 2 shown]
.long 0xE0541000, 0x800D7A5E
.long 0xD3CD8050, 0x0542113A
.long 0xD3CD8054, 0x0552153A
.long 0xD3CD8058, 0x0562193A
.long 0xBF8C0F7F
.long 0x7F12037C
.long 0xD3CD805C, 0x05721D3A
.long 0xE0541000, 0x800D7C5F
.long 0xD3CD8060, 0x0582113C
.long 0xD3CD8064, 0x0592153C
.long 0xD3CD8068, 0x05A2193C
.long 0xD3CD806C, 0x05B21D3C
.long 0xBF8C0F7F
.long 0x7F14037E
.long 0xD3CD8070, 0x05C2113E
.long 0xE0541000, 0x800D7E60
	;; [unrolled: 8-line block ×3, first 2 shown]
.long 0xD3CD8088, 0x06221940
.long 0xD3CD808C, 0x06321D40
	;; [unrolled: 1-line block ×5, first 2 shown]
.long 0xBF8CC07F
.long 0xBF8A0000
.long 0xD3CD809C, 0x06721D42
.long 0xD8EC0000, 0x10000082
	;; [unrolled: 1-line block ×65, first 2 shown]
.long 0x808B810B
.long 0xBF8CC07F
.long 0xD3CD8000, 0x04020110
.long 0xD8EC0020, 0x30000082
.long 0x80300F30
.long 0xD3CD8004, 0x04120510
.long 0xD8EC0460, 0x32000082
	;; [unrolled: 3-line block ×13, first 2 shown]
.long 0xD3CD8034, 0x04D20516
.long 0xD8EC3760, 0x4A000082
	;; [unrolled: 1-line block ×39, first 2 shown]
.long 0xBF8CC07F
.long 0xBF8A0000
.long 0xD3CD8064, 0x0592051C
.long 0xBF8C0F7F
.long 0x7F080362
.long 0xD3CD8068, 0x05A2091C
.long 0xE0541000, 0x800D625A
.long 0xD3CD806C, 0x05B20D1C
.long 0xD3CD8070, 0x05C2011E
.long 0xD3CD8074, 0x05D2051E
.long 0xBF8C0F7F
.long 0x7F0A0364
.long 0xD3CD8078, 0x05E2091E
.long 0xE0541000, 0x800D645B
.long 0xD3CD807C, 0x05F20D1E
.long 0xD3CD8080, 0x06020120
.long 0xD3CD8084, 0x06120520
.long 0xD3CD8088, 0x06220920
.long 0xBF8C0F7F
.long 0x7F0C0366
.long 0xD3CD808C, 0x06320D20
.long 0xE0541000, 0x800D665C
.long 0xD3CD8090, 0x06420122
.long 0xD3CD8094, 0x06520522
.long 0xD3CD8098, 0x06620922
.long 0xD3CD809C, 0x06720D22
.long 0xBF8C0F7F
.long 0x7F0E0368
.long 0xD3CD80A0, 0x06820124
.long 0xE0541000, 0x800D685D
.long 0xD3CD80A4, 0x06920524
.long 0xD3CD80A8, 0x06A20924
.long 0xD3CD80AC, 0x06B20D24
.long 0xD3CD80B0, 0x06C20126
.long 0xBF8C0F7F
.long 0x7F10036A
.long 0xD3CD80B4, 0x06D20526
.long 0xE0541000, 0x800D6A5E
.long 0xD3CD80B8, 0x06E20926
.long 0xD3CD80BC, 0x06F20D26
.long 0xD3CD80C0, 0x07020128
.long 0xBF8C0F7F
.long 0x7F12036C
.long 0xD3CD80C4, 0x07120528
.long 0xE0541000, 0x800D6C5F
.long 0xD3CD80C8, 0x07220928
.long 0xD3CD80CC, 0x07320D28
.long 0xD3CD80D0, 0x0742012A
.long 0xD3CD80D4, 0x0752052A
.long 0xBF8C0F7F
.long 0x7F14036E
.long 0xD3CD80D8, 0x0762092A
.long 0xE0541000, 0x800D6E60
	;; [unrolled: 8-line block ×3, first 2 shown]
.long 0xD3CD80F0, 0x07C2012E
.long 0xD3CD80F4, 0x07D2052E
	;; [unrolled: 1-line block ×4, first 2 shown]
.long 0xBF8C0F7F
.long 0xD89A0000, 0x00007251
.long 0xD3CD8000, 0x04021130
.long 0xE0501000, 0x800C7252
.long 0xD3CD8004, 0x04121530
.long 0xD3CD8008, 0x04221930
.long 0xD3CD800C, 0x04321D30
.long 0xBF8C0F7F
.long 0xD89A0220, 0x00007451
.long 0xD3CD8010, 0x04421132
.long 0xE0501000, 0x800C7453
.long 0xD3CD8014, 0x04521532
.long 0xD3CD8018, 0x04621932
.long 0xD3CD801C, 0x04721D32
.long 0xD3CD8020, 0x04821134
.long 0xBF8C0F7F
.long 0xD89A0440, 0x00007651
.long 0xD3CD8024, 0x04921534
.long 0xE0501000, 0x800C7654
.long 0xD3CD8028, 0x04A21934
.long 0xD3CD802C, 0x04B21D34
.long 0xD3CD8030, 0x04C21136
.long 0xD3CD8034, 0x04D21536
.long 0xBF8C0F7F
.long 0xD89A0660, 0x00007851
.long 0xD3CD8038, 0x04E21936
.long 0xE0501000, 0x800C7855
.long 0xD3CD803C, 0x04F21D36
.long 0xD3CD8040, 0x05021138
.long 0xD3CD8044, 0x05121538
.long 0xD3CD8048, 0x05221938
.long 0xBF8C0F7F
.long 0xD89A0880, 0x00007A51
.long 0xD3CD804C, 0x05321D38
.long 0xE0501000, 0x800C7A56
.long 0xD3CD8050, 0x0542113A
.long 0xD3CD8054, 0x0552153A
.long 0xD3CD8058, 0x0562193A
.long 0xBF8C0F7F
.long 0xD89A0AA0, 0x00007C51
.long 0xD3CD805C, 0x05721D3A
.long 0xE0501000, 0x800C7C57
.long 0xD3CD8060, 0x0582113C
.long 0xD3CD8064, 0x0592153C
.long 0xD3CD8068, 0x05A2193C
.long 0xD3CD806C, 0x05B21D3C
.long 0xBF8C0F7F
.long 0xD89A0CC0, 0x00007E51
.long 0xD3CD8070, 0x05C2113E
	;; [unrolled: 8-line block ×3, first 2 shown]
.long 0xE0501000, 0x800C8059
.long 0xD3CD8088, 0x06221940
	;; [unrolled: 1-line block ×6, first 2 shown]
.long 0xBF8CC07F
.long 0xBF8A0000
.long 0xD3CD809C, 0x06721D42
.long 0xD8EC0000, 0x10000082
	;; [unrolled: 1-line block ×65, first 2 shown]
.long 0x808B810B
.long 0xBF00820B
.long 0xBF84FC0A
.long 0xBF8CC07F
.long 0xD3CD8000, 0x04020110
.long 0xD8EC0020, 0x30000082
.long 0x80300F30
.long 0xD3CD8004, 0x04120510
.long 0xD8EC0460, 0x32000082
.long 0x82318031
	;; [unrolled: 3-line block ×12, first 2 shown]
.long 0xD3CD8030, 0x04C20116
.long 0xD8EC3320, 0x48000082
	;; [unrolled: 1-line block ×42, first 2 shown]
.long 0xBF8CC07F
.long 0xBF8A0000
.long 0xD3CD8068, 0x05A2091C
.long 0xBF8C0F7F
.long 0xD89A0000, 0x00006251
.long 0xD3CD806C, 0x05B20D1C
.long 0xD3CD8070, 0x05C2011E
.long 0xD3CD8074, 0x05D2051E
.long 0xBF8C0F7E
.long 0xD89A0220, 0x00006451
.long 0xD3CD8078, 0x05E2091E
.long 0xD3CD807C, 0x05F20D1E
.long 0xD3CD8080, 0x06020120
.long 0xD3CD8084, 0x06120520
.long 0xD3CD8088, 0x06220920
.long 0xBF8C0F7D
.long 0xD89A0440, 0x00006651
.long 0xD3CD808C, 0x06320D20
	;; [unrolled: 7-line block ×4, first 2 shown]
.long 0xD3CD80B8, 0x06E20926
.long 0xD3CD80BC, 0x06F20D26
.long 0xD3CD80C0, 0x07020128
.long 0xBF8C0F7A
.long 0xD89A0AA0, 0x00006C51
.long 0xD3CD80C4, 0x07120528
.long 0xD3CD80C8, 0x07220928
.long 0xD3CD80CC, 0x07320D28
.long 0xD3CD80D0, 0x0742012A
.long 0xD3CD80D4, 0x0752052A
.long 0xBF8C0F79
.long 0xD89A0CC0, 0x00006E51
.long 0xD3CD80D8, 0x0762092A
.long 0xD3CD80DC, 0x07720D2A
	;; [unrolled: 7-line block ×3, first 2 shown]
.long 0xD3CD80F4, 0x07D2052E
.long 0xD3CD80F8, 0x07E2092E
	;; [unrolled: 1-line block ×3, first 2 shown]
.long 0xBF8C0F77
.long 0x7F080372
.long 0xD3CD8000, 0x04021130
.long 0xD3CD8004, 0x04121530
.long 0xD3CD8008, 0x04221930
.long 0xD3CD800C, 0x04321D30
.long 0xBF8C0F76
.long 0x7F0A0374
.long 0xD3CD8010, 0x04421132
.long 0xD3CD8014, 0x04521532
.long 0xD3CD8018, 0x04621932
.long 0xD3CD801C, 0x04721D32
.long 0xD3CD8020, 0x04821134
.long 0xBF8C0F75
.long 0x7F0C0376
.long 0xD3CD8024, 0x04921534
.long 0xD3CD8028, 0x04A21934
.long 0xD3CD802C, 0x04B21D34
.long 0xD3CD8030, 0x04C21136
.long 0xD3CD8034, 0x04D21536
.long 0xBF8C0F74
.long 0x7F0E0378
.long 0xD3CD8038, 0x04E21936
.long 0xD3CD803C, 0x04F21D36
.long 0xD3CD8040, 0x05021138
.long 0xD3CD8044, 0x05121538
.long 0xD3CD8048, 0x05221938
.long 0xBF8C0F73
.long 0x7F10037A
.long 0xD3CD804C, 0x05321D38
.long 0xD3CD8050, 0x0542113A
.long 0xD3CD8054, 0x0552153A
.long 0xD3CD8058, 0x0562193A
.long 0xBF8C0F72
.long 0x7F12037C
.long 0xD3CD805C, 0x05721D3A
.long 0xD3CD8060, 0x0582113C
.long 0xD3CD8064, 0x0592153C
.long 0xD3CD8068, 0x05A2193C
.long 0xD3CD806C, 0x05B21D3C
.long 0xBF8C0F71
.long 0x7F14037E
.long 0xD3CD8070, 0x05C2113E
.long 0xD3CD8074, 0x05D2153E
	;; [unrolled: 7-line block ×3, first 2 shown]
.long 0xD3CD808C, 0x06321D40
.long 0xD3CD8090, 0x06421142
	;; [unrolled: 1-line block ×4, first 2 shown]
.long 0xBF8CC07F
.long 0xBF8A0000
.long 0xD3CD809C, 0x06721D42
.long 0xD8EC0000, 0x10000082
	;; [unrolled: 1-line block ×65, first 2 shown]
.long 0xBF06812E
.long 0xBF840000
	;; [unrolled: 1-line block ×3, first 2 shown]
.long 0xD3CD8000, 0x04020110
.long 0xD8EC0020, 0x30000082
	;; [unrolled: 1-line block ×104, first 2 shown]
.long 0xBF8CC07F
.long 0xD3CD8000, 0x04021130
.long 0xD3CD8004, 0x04121530
	;; [unrolled: 1-line block ×64, first 2 shown]
.long 0x860B1B9F
.long 0xBF070908
.long 0xBE8B0280
.long 0xBF06800B
.long 0xBE8C0080
.long 0xBF8502AB
.long 0xE0801000, 0x800C6252
.long 0xE0801001, 0x800C0052
.long 0xE0841002, 0x800C0152
.long 0xE0841003, 0x800C0252
.long 0xBF8C0F72
.long 0x24000088
.long 0x28C40162
.long 0xBF8C0F71
.long 0x28C40362
.long 0xBF8C0F70
.long 0x24040488
.long 0x28C40562
.long 0xE0801000, 0x800C6453
.long 0xE0801001, 0x800C0053
.long 0xE0841002, 0x800C0153
.long 0xE0841003, 0x800C0253
.long 0xBF8C0F72
.long 0x24000088
	;; [unrolled: 12-line block ×8, first 2 shown]
.long 0x28E00170
.long 0xBF8C0F71
	;; [unrolled: 1-line block ×6, first 2 shown]
.long 0xE0901000, 0x800D725A
.long 0xE0941002, 0x800D005A
.long 0xBF8C0F70
.long 0x28E40172
.long 0xE0901004, 0x800D735A
.long 0xE0941006, 0x800D005A
.long 0xBF8C0F70
.long 0x28E60173
	;; [unrolled: 4-line block ×16, first 2 shown]
.long 0xBF8C0F70
.long 0xBF8A0000
	;; [unrolled: 1-line block ×10, first 2 shown]
.long 0xD89A0000, 0x00007251
.long 0xD89A0220, 0x00007451
	;; [unrolled: 1-line block ×8, first 2 shown]
.long 0xBF8CC07F
.long 0xBF8A0000
.long 0xD8EC0000, 0x10000082
.long 0xD8EC0440, 0x12000082
	;; [unrolled: 1-line block ×16, first 2 shown]
.long 0xBE8500A0
.long 0x33050405
	;; [unrolled: 1-line block ×3, first 2 shown]
.long 0x7F18ACF9, 0x00040684
.long 0x7E0014F9, 0x0006148C
	;; [unrolled: 1-line block ×24, first 2 shown]
.long 0x7F080388
.long 0x7F0A0389
	;; [unrolled: 1-line block ×7, first 2 shown]
.long 0xD0C6003E, 0x00001758
.long 0xD1000000, 0x00F90100
	;; [unrolled: 1-line block ×41, first 2 shown]
.long 0x6AB0B00B
.long 0xD0C1003E, 0x00010958
.long 0x8640830B
.long 0x80C04084
	;; [unrolled: 1-line block ×3, first 2 shown]
.long 0xD28F005A, 0x00020040
.long 0xD1000000, 0x00FAB500
	;; [unrolled: 1-line block ×60, first 2 shown]
.long 0xBF800001
.long 0xD3CD8000, 0x04020110
.long 0xD3CD8004, 0x04120510
.long 0xD3CD8008, 0x04220910
.long 0xD3CD800C, 0x04320D10
.long 0xD3CD8010, 0x04420112
.long 0xD3CD8014, 0x04520512
.long 0xD3CD8018, 0x04620912
.long 0xD3CD801C, 0x04720D12
.long 0xD3CD8020, 0x04820114
.long 0xD3CD8024, 0x04920514
.long 0xD3CD8028, 0x04A20914
.long 0xD3CD802C, 0x04B20D14
.long 0xD3CD8030, 0x04C20116
.long 0xD3CD8034, 0x04D20516
.long 0xD3CD8038, 0x04E20916
.long 0xD3CD803C, 0x04F20D16
.long 0xD3CD8040, 0x05020118
.long 0xD3CD8044, 0x05120518
.long 0xD3CD8048, 0x05220918
.long 0xD3CD804C, 0x05320D18
.long 0xD3CD8050, 0x0542011A
.long 0xD3CD8054, 0x0552051A
.long 0xD3CD8058, 0x0562091A
.long 0xD3CD805C, 0x05720D1A
.long 0xD3CD8060, 0x0582011C
.long 0xD3CD8064, 0x0592051C
.long 0xD3CD8068, 0x05A2091C
.long 0xD3CD806C, 0x05B20D1C
.long 0xD3CD8070, 0x05C2011E
.long 0xD3CD8074, 0x05D2051E
.long 0xD3CD8078, 0x05E2091E
.long 0xD3CD807C, 0x05F20D1E
.long 0xD3CD8080, 0x06020120
.long 0xD3CD8084, 0x06120520
.long 0xD3CD8088, 0x06220920
.long 0xD3CD808C, 0x06320D20
.long 0xD3CD8090, 0x06420122
.long 0xD3CD8094, 0x06520522
.long 0xD3CD8098, 0x06620922
.long 0xD3CD809C, 0x06720D22
.long 0xD3CD80A0, 0x06820124
.long 0xD3CD80A4, 0x06920524
.long 0xD3CD80A8, 0x06A20924
.long 0xD3CD80AC, 0x06B20D24
.long 0xD3CD80B0, 0x06C20126
.long 0xD3CD80B4, 0x06D20526
.long 0xD3CD80B8, 0x06E20926
.long 0xD3CD80BC, 0x06F20D26
.long 0xD3CD80C0, 0x07020128
.long 0xD3CD80C4, 0x07120528
.long 0xD3CD80C8, 0x07220928
.long 0xD3CD80CC, 0x07320D28
.long 0xD3CD80D0, 0x0742012A
.long 0xD3CD80D4, 0x0752052A
.long 0xD3CD80D8, 0x0762092A
.long 0xD3CD80DC, 0x07720D2A
.long 0xD3CD80E0, 0x0782012C
.long 0xD3CD80E4, 0x0792052C
.long 0xD3CD80E8, 0x07A2092C
.long 0xD3CD80EC, 0x07B20D2C
.long 0xD3CD80F0, 0x07C2012E
.long 0xD3CD80F4, 0x07D2052E
.long 0xD3CD80F8, 0x07E2092E
.long 0xD3CD80FC, 0x07F20D2E
.long 0x818B900B
.long 0x800C900C
	;; [unrolled: 1-line block ×8, first 2 shown]
.long 0xC00E0C00, 0x00000058
.long 0xC00A0E00, 0x00000078
	;; [unrolled: 1-line block ×3, first 2 shown]
.long 0xBF82000A
.long 0xC00A0C03, 0x00000070
.long 0xC00A0D03, 0x00000090
	;; [unrolled: 1-line block ×5, first 2 shown]
.long 0x7E060202
.long 0x0C0606FF, 0xFFFFFF00
.long 0x32060618
.long 0x7E0802FF, 0x00000100
.long 0xD0C9003E, 0x00020903
	;; [unrolled: 1-line block ×3, first 2 shown]
.long 0x200B0686
.long 0x260A0A83
	;; [unrolled: 1-line block ×4, first 2 shown]
.long 0xD0CA003E, 0x00020B06
.long 0xD1000003, 0x00FA0704
.long 0x20080686
.long 0x240C0A80
	;; [unrolled: 1-line block ×14, first 2 shown]
.long 0xD0CA006A, 0x00010307
.long 0xBF870007
.long 0xD0CA006A, 0x00010507
.long 0xBF870007
	;; [unrolled: 2-line block ×3, first 2 shown]
.long 0xBF8206EA
.long 0xD0CA006A, 0x00010104
.long 0xBF870006
.long 0xD0CA006A, 0x00010104
	;; [unrolled: 2-line block ×6, first 2 shown]
.long 0xBF870390
.long 0xBEBE0080
.long 0xD0DA003E, 0x00007D06
.long 0x260106BF
.long 0x24000082
.long 0xD3D84007, 0x1800010C
.long 0xBF800001
.long 0xD3D94000, 0x18000107
.long 0xD3D84007, 0x1800010D
.long 0xBF800001
.long 0xD3D94001, 0x18000107
	;; [unrolled: 3-line block ×64, first 2 shown]
.long 0xBEBE01C1
.long 0xBEEA213E
	;; [unrolled: 1-line block ×4, first 2 shown]
.long 0xD0DA003E, 0x00007D06
.long 0x260106BF
.long 0x24000082
.long 0xD3D84007, 0x18000108
.long 0xD3D84008, 0x1800010C
.long 0xBF800001
.long 0xD3D94000, 0x18000107
.long 0xD3D94004, 0x18000108
.long 0xD3D84007, 0x18000109
.long 0xD3D84008, 0x1800010D
.long 0xBF800001
.long 0xD3D94001, 0x18000107
.long 0xD3D94005, 0x18000108
	;; [unrolled: 5-line block ×64, first 2 shown]
.long 0xBEBE01C1
.long 0xBEEA213E
	;; [unrolled: 1-line block ×4, first 2 shown]
.long 0xD0DA003E, 0x00007D06
.long 0x260106BF
.long 0x24000082
.long 0xD3D84007, 0x18000104
.long 0xD3D84008, 0x18000108
.long 0xD3D84009, 0x1800010C
.long 0xBF800001
.long 0xD3D94000, 0x18000107
.long 0xD3D94004, 0x18000108
.long 0xD3D94008, 0x18000109
.long 0xD3D84007, 0x18000105
.long 0xD3D84008, 0x18000109
.long 0xD3D84009, 0x1800010D
.long 0xBF800001
.long 0xD3D94001, 0x18000107
.long 0xD3D94005, 0x18000108
.long 0xD3D94009, 0x18000109
	;; [unrolled: 7-line block ×64, first 2 shown]
.long 0xBEBE01C1
.long 0xBEEA213E
	;; [unrolled: 1-line block ×5, first 2 shown]
.long 0xD2850005, 0x00020A90
.long 0x260306BF
.long 0x20020284
	;; [unrolled: 1-line block ×3, first 2 shown]
.long 0xD1FE0001, 0x02020305
.long 0xD2850002, 0x00004D01
.long 0xD2850003, 0x00004901
.long 0x26000883
.long 0xD2850000, 0x00020090
.long 0x260B068F
.long 0xD1FE0000, 0x020A0105
.long 0x920502FF, 0x00000100
.long 0x68000005
.long 0x920503FF, 0x00000100
.long 0x68020205
.long 0xBF8CC07F
	;; [unrolled: 1-line block ×4, first 2 shown]
.long 0x864818FF, 0x000000FF
.long 0x80490DC1
.long 0xBF094902
	;; [unrolled: 1-line block ×5, first 2 shown]
.long 0x864819FF, 0x000000FF
.long 0x80490EC1
.long 0xBF094903
	;; [unrolled: 1-line block ×5, first 2 shown]
.long 0xD1FE0006, 0x020A0103
.long 0xD3D84008, 0x18000100
	;; [unrolled: 1-line block ×65, first 2 shown]
.long 0xBF800001
.long 0xE07C1000, 0x80040806
.long 0x8E3E8224
.long 0x80103E10
.long 0x82118011
.long 0xE07C1000, 0x80040C06
.long 0x8E3E8224
.long 0x80103E10
	;; [unrolled: 4-line block ×15, first 2 shown]
.long 0x82118011
.long 0xE07C1000, 0x80044406
.long 0xBF800000
.long 0xD3D84008, 0x18000140
.long 0xD3D84009, 0x18000144
	;; [unrolled: 1-line block ×64, first 2 shown]
.long 0xBF800001
.long 0x923EB424
	;; [unrolled: 1-line block ×4, first 2 shown]
.long 0xE07C1000, 0x80040806
.long 0x8E3E8224
.long 0x80103E10
.long 0x82118011
.long 0xE07C1000, 0x80040C06
.long 0x8E3E8224
.long 0x80103E10
.long 0x82118011
	;; [unrolled: 4-line block ×15, first 2 shown]
.long 0xE07C1000, 0x80044406
.long 0xBF800000
.long 0xD3D84008, 0x18000180
.long 0xD3D84009, 0x18000184
	;; [unrolled: 1-line block ×64, first 2 shown]
.long 0xBF800001
.long 0x923EB424
	;; [unrolled: 1-line block ×4, first 2 shown]
.long 0xE07C1000, 0x80040806
.long 0x8E3E8224
.long 0x80103E10
.long 0x82118011
.long 0xE07C1000, 0x80040C06
.long 0x8E3E8224
.long 0x80103E10
.long 0x82118011
	;; [unrolled: 4-line block ×15, first 2 shown]
.long 0xE07C1000, 0x80044406
.long 0xBF800000
.long 0xD3D84008, 0x180001C0
.long 0xD3D84009, 0x180001C4
.long 0xD3D8400A, 0x180001C8
.long 0xD3D8400B, 0x180001CC
.long 0xD3D8400C, 0x180001C1
.long 0xD3D8400D, 0x180001C5
.long 0xD3D8400E, 0x180001C9
.long 0xD3D8400F, 0x180001CD
.long 0xD3D84010, 0x180001C2
.long 0xD3D84011, 0x180001C6
.long 0xD3D84012, 0x180001CA
.long 0xD3D84013, 0x180001CE
.long 0xD3D84014, 0x180001C3
.long 0xD3D84015, 0x180001C7
.long 0xD3D84016, 0x180001CB
.long 0xD3D84017, 0x180001CF
.long 0xD3D84018, 0x180001D0
.long 0xD3D84019, 0x180001D4
.long 0xD3D8401A, 0x180001D8
.long 0xD3D8401B, 0x180001DC
.long 0xD3D8401C, 0x180001D1
.long 0xD3D8401D, 0x180001D5
.long 0xD3D8401E, 0x180001D9
.long 0xD3D8401F, 0x180001DD
.long 0xD3D84020, 0x180001D2
.long 0xD3D84021, 0x180001D6
.long 0xD3D84022, 0x180001DA
.long 0xD3D84023, 0x180001DE
.long 0xD3D84024, 0x180001D3
.long 0xD3D84025, 0x180001D7
.long 0xD3D84026, 0x180001DB
.long 0xD3D84027, 0x180001DF
.long 0xD3D84028, 0x180001E0
.long 0xD3D84029, 0x180001E4
.long 0xD3D8402A, 0x180001E8
.long 0xD3D8402B, 0x180001EC
.long 0xD3D8402C, 0x180001E1
.long 0xD3D8402D, 0x180001E5
.long 0xD3D8402E, 0x180001E9
.long 0xD3D8402F, 0x180001ED
.long 0xD3D84030, 0x180001E2
.long 0xD3D84031, 0x180001E6
.long 0xD3D84032, 0x180001EA
.long 0xD3D84033, 0x180001EE
.long 0xD3D84034, 0x180001E3
.long 0xD3D84035, 0x180001E7
.long 0xD3D84036, 0x180001EB
.long 0xD3D84037, 0x180001EF
.long 0xD3D84038, 0x180001F0
.long 0xD3D84039, 0x180001F4
.long 0xD3D8403A, 0x180001F8
.long 0xD3D8403B, 0x180001FC
.long 0xD3D8403C, 0x180001F1
.long 0xD3D8403D, 0x180001F5
.long 0xD3D8403E, 0x180001F9
.long 0xD3D8403F, 0x180001FD
.long 0xD3D84040, 0x180001F2
.long 0xD3D84041, 0x180001F6
.long 0xD3D84042, 0x180001FA
.long 0xD3D84043, 0x180001FE
.long 0xD3D84044, 0x180001F3
.long 0xD3D84045, 0x180001F7
.long 0xD3D84046, 0x180001FB
.long 0xD3D84047, 0x180001FF
.long 0xBF800001
.long 0x923EB424
	;; [unrolled: 1-line block ×4, first 2 shown]
.long 0xE07C1000, 0x80040806
.long 0x8E3E8224
.long 0x80103E10
.long 0x82118011
.long 0xE07C1000, 0x80040C06
.long 0x8E3E8224
.long 0x80103E10
.long 0x82118011
	;; [unrolled: 4-line block ×15, first 2 shown]
.long 0xE07C1000, 0x80044406
.long 0xBF800000
.long 0xBF821059
.long 0x7E4C02FF, 0x80000000
.long 0xD0C90048, 0x00003100
.long 0xD0C9004C, 0x00003301
.long 0x86CC4C48
.long 0xD1FE0006, 0x020A0103
.long 0xD1000006, 0x01320D26
.long 0xD1196A04, 0x00010300
.long 0xD0C90048, 0x00003104
.long 0xD0C9004C, 0x00003301
.long 0x86CC4C48
.long 0xD1FE0008, 0x020A0903
.long 0xD1000008, 0x01321126
.long 0xD1196A04, 0x00010500
.long 0xD0C90048, 0x00003104
.long 0xD0C9004C, 0x00003301
.long 0x86CC4C48
.long 0xD1FE000A, 0x020A0903
.long 0xD100000A, 0x01321526
.long 0xD1196A04, 0x00010700
.long 0xD0C90048, 0x00003104
.long 0xD0C9004C, 0x00003301
.long 0x86CC4C48
.long 0xD1FE000C, 0x020A0903
.long 0xD100000C, 0x01321926
.long 0xD1196A01, 0x00010301
.long 0xD1340002, 0x00004D02
.long 0xD1340003, 0x00004903
.long 0xD0C90048, 0x00003100
.long 0xD0C9004C, 0x00003301
.long 0x86CC4C48
.long 0xD1FE000E, 0x020A0103
.long 0xD100000E, 0x01321D26
.long 0xD1196A04, 0x00010300
.long 0xD0C90048, 0x00003104
.long 0xD0C9004C, 0x00003301
.long 0x86CC4C48
.long 0xD1FE0010, 0x020A0903
.long 0xD1000010, 0x01322126
.long 0xD1196A04, 0x00010500
.long 0xD0C90048, 0x00003104
.long 0xD0C9004C, 0x00003301
.long 0x86CC4C48
.long 0xD1FE0012, 0x020A0903
.long 0xD1000012, 0x01322526
.long 0xD1196A04, 0x00010700
.long 0xD0C90048, 0x00003104
.long 0xD0C9004C, 0x00003301
.long 0x86CC4C48
.long 0xD1FE0014, 0x020A0903
.long 0xD1000014, 0x01322926
.long 0xD1196A01, 0x00010301
.long 0xD1340002, 0x00004D02
.long 0xD1340003, 0x00004903
.long 0xD0C90048, 0x00003100
.long 0xD0C9004C, 0x00003301
.long 0x86CC4C48
.long 0xD1FE0016, 0x020A0103
.long 0xD1000016, 0x01322D26
.long 0xD1196A04, 0x00010300
.long 0xD0C90048, 0x00003104
.long 0xD0C9004C, 0x00003301
.long 0x86CC4C48
.long 0xD1FE0018, 0x020A0903
.long 0xD1000018, 0x01323126
.long 0xD1196A04, 0x00010500
.long 0xD0C90048, 0x00003104
.long 0xD0C9004C, 0x00003301
.long 0x86CC4C48
.long 0xD1FE001A, 0x020A0903
.long 0xD100001A, 0x01323526
.long 0xD1196A04, 0x00010700
.long 0xD0C90048, 0x00003104
.long 0xD0C9004C, 0x00003301
.long 0x86CC4C48
.long 0xD1FE001C, 0x020A0903
.long 0xD100001C, 0x01323926
.long 0xD1196A01, 0x00010301
.long 0xD1340002, 0x00004D02
.long 0xD1340003, 0x00004903
.long 0xD0C90048, 0x00003100
.long 0xD0C9004C, 0x00003301
.long 0x86CC4C48
.long 0xD1FE001E, 0x020A0103
.long 0xD100001E, 0x01323D26
.long 0xD1196A04, 0x00010300
.long 0xD0C90048, 0x00003104
.long 0xD0C9004C, 0x00003301
.long 0x86CC4C48
.long 0xD1FE0020, 0x020A0903
.long 0xD1000020, 0x01324126
.long 0xD1196A04, 0x00010500
.long 0xD0C90048, 0x00003104
.long 0xD0C9004C, 0x00003301
.long 0x86CC4C48
.long 0xD1FE0022, 0x020A0903
.long 0xD1000022, 0x01324526
.long 0xD1196A04, 0x00010700
.long 0xD0C90048, 0x00003104
.long 0xD0C9004C, 0x00003301
.long 0x86CC4C48
.long 0xD1FE0024, 0x020A0903
.long 0xD1000024, 0x01324926
.long 0xD3D84007, 0x18000100
.long 0xD3D84009, 0x18000104
.long 0xD3D8400B, 0x18000108
.long 0xD3D8400D, 0x1800010C
	;; [unrolled: 1-line block ×14, first 2 shown]
.long 0xBF800001
.long 0xE0701000, 0x80040706
.long 0xE0701000, 0x80040908
.long 0xE0701000, 0x80040B0A
.long 0xE0701000, 0x80040D0C
.long 0xE0701000, 0x80040F0E
.long 0xE0701000, 0x80041110
.long 0xE0701000, 0x80041312
.long 0xE0701000, 0x80041514
.long 0xE0701000, 0x80041716
.long 0xE0701000, 0x80041918
.long 0xE0701000, 0x80041B1A
.long 0xE0701000, 0x80041D1C
.long 0xE0701000, 0x80041F1E
.long 0xE0701000, 0x80042120
.long 0xE0701000, 0x80042322
.long 0xE0701000, 0x80042524
.long 0xBF800000
.long 0x7E4C02FF, 0x80000000
.long 0xD1196A01, 0x00011B01
.long 0x92488D26
.long 0xD1340002, 0x00009102
.long 0x92488D24
.long 0xD1340003, 0x00009103
.long 0xD0C90048, 0x00003100
.long 0xD0C9004C, 0x00003301
.long 0x86CC4C48
.long 0xD1FE0006, 0x020A0103
.long 0xD1000006, 0x01320D26
.long 0xD1196A04, 0x00010300
.long 0xD0C90048, 0x00003104
.long 0xD0C9004C, 0x00003301
.long 0x86CC4C48
.long 0xD1FE0008, 0x020A0903
.long 0xD1000008, 0x01321126
.long 0xD1196A04, 0x00010500
.long 0xD0C90048, 0x00003104
.long 0xD0C9004C, 0x00003301
.long 0x86CC4C48
.long 0xD1FE000A, 0x020A0903
.long 0xD100000A, 0x01321526
.long 0xD1196A04, 0x00010700
.long 0xD0C90048, 0x00003104
.long 0xD0C9004C, 0x00003301
.long 0x86CC4C48
.long 0xD1FE000C, 0x020A0903
.long 0xD100000C, 0x01321926
.long 0xD1196A01, 0x00010301
.long 0xD1340002, 0x00004D02
.long 0xD1340003, 0x00004903
.long 0xD0C90048, 0x00003100
.long 0xD0C9004C, 0x00003301
.long 0x86CC4C48
.long 0xD1FE000E, 0x020A0103
.long 0xD100000E, 0x01321D26
.long 0xD1196A04, 0x00010300
.long 0xD0C90048, 0x00003104
.long 0xD0C9004C, 0x00003301
.long 0x86CC4C48
.long 0xD1FE0010, 0x020A0903
.long 0xD1000010, 0x01322126
.long 0xD1196A04, 0x00010500
.long 0xD0C90048, 0x00003104
.long 0xD0C9004C, 0x00003301
.long 0x86CC4C48
.long 0xD1FE0012, 0x020A0903
.long 0xD1000012, 0x01322526
.long 0xD1196A04, 0x00010700
.long 0xD0C90048, 0x00003104
.long 0xD0C9004C, 0x00003301
.long 0x86CC4C48
.long 0xD1FE0014, 0x020A0903
.long 0xD1000014, 0x01322926
.long 0xD1196A01, 0x00010301
.long 0xD1340002, 0x00004D02
.long 0xD1340003, 0x00004903
.long 0xD0C90048, 0x00003100
.long 0xD0C9004C, 0x00003301
.long 0x86CC4C48
.long 0xD1FE0016, 0x020A0103
.long 0xD1000016, 0x01322D26
.long 0xD1196A04, 0x00010300
.long 0xD0C90048, 0x00003104
.long 0xD0C9004C, 0x00003301
.long 0x86CC4C48
.long 0xD1FE0018, 0x020A0903
.long 0xD1000018, 0x01323126
.long 0xD1196A04, 0x00010500
.long 0xD0C90048, 0x00003104
.long 0xD0C9004C, 0x00003301
.long 0x86CC4C48
.long 0xD1FE001A, 0x020A0903
.long 0xD100001A, 0x01323526
.long 0xD1196A04, 0x00010700
.long 0xD0C90048, 0x00003104
.long 0xD0C9004C, 0x00003301
.long 0x86CC4C48
.long 0xD1FE001C, 0x020A0903
.long 0xD100001C, 0x01323926
.long 0xD1196A01, 0x00010301
.long 0xD1340002, 0x00004D02
.long 0xD1340003, 0x00004903
.long 0xD0C90048, 0x00003100
.long 0xD0C9004C, 0x00003301
.long 0x86CC4C48
.long 0xD1FE001E, 0x020A0103
.long 0xD100001E, 0x01323D26
.long 0xD1196A04, 0x00010300
.long 0xD0C90048, 0x00003104
.long 0xD0C9004C, 0x00003301
.long 0x86CC4C48
.long 0xD1FE0020, 0x020A0903
.long 0xD1000020, 0x01324126
.long 0xD1196A04, 0x00010500
.long 0xD0C90048, 0x00003104
.long 0xD0C9004C, 0x00003301
.long 0x86CC4C48
.long 0xD1FE0022, 0x020A0903
.long 0xD1000022, 0x01324526
.long 0xD1196A04, 0x00010700
.long 0xD0C90048, 0x00003104
.long 0xD0C9004C, 0x00003301
.long 0x86CC4C48
.long 0xD1FE0024, 0x020A0903
.long 0xD1000024, 0x01324926
.long 0xD3D84007, 0x18000110
.long 0xD3D84009, 0x18000114
.long 0xD3D8400B, 0x18000118
.long 0xD3D8400D, 0x1800011C
	;; [unrolled: 1-line block ×14, first 2 shown]
.long 0xBF800001
.long 0xE0701000, 0x80040706
.long 0xE0701000, 0x80040908
	;; [unrolled: 1-line block ×16, first 2 shown]
.long 0xBF800000
.long 0x7E4C02FF, 0x80000000
.long 0xD1196A01, 0x00011B01
.long 0x92488D26
.long 0xD1340002, 0x00009102
.long 0x92488D24
.long 0xD1340003, 0x00009103
.long 0xD0C90048, 0x00003100
.long 0xD0C9004C, 0x00003301
.long 0x86CC4C48
.long 0xD1FE0006, 0x020A0103
.long 0xD1000006, 0x01320D26
.long 0xD1196A04, 0x00010300
.long 0xD0C90048, 0x00003104
.long 0xD0C9004C, 0x00003301
.long 0x86CC4C48
.long 0xD1FE0008, 0x020A0903
.long 0xD1000008, 0x01321126
.long 0xD1196A04, 0x00010500
.long 0xD0C90048, 0x00003104
.long 0xD0C9004C, 0x00003301
.long 0x86CC4C48
.long 0xD1FE000A, 0x020A0903
.long 0xD100000A, 0x01321526
.long 0xD1196A04, 0x00010700
.long 0xD0C90048, 0x00003104
.long 0xD0C9004C, 0x00003301
.long 0x86CC4C48
.long 0xD1FE000C, 0x020A0903
.long 0xD100000C, 0x01321926
.long 0xD1196A01, 0x00010301
.long 0xD1340002, 0x00004D02
.long 0xD1340003, 0x00004903
.long 0xD0C90048, 0x00003100
.long 0xD0C9004C, 0x00003301
.long 0x86CC4C48
.long 0xD1FE000E, 0x020A0103
.long 0xD100000E, 0x01321D26
.long 0xD1196A04, 0x00010300
.long 0xD0C90048, 0x00003104
.long 0xD0C9004C, 0x00003301
.long 0x86CC4C48
.long 0xD1FE0010, 0x020A0903
.long 0xD1000010, 0x01322126
.long 0xD1196A04, 0x00010500
.long 0xD0C90048, 0x00003104
.long 0xD0C9004C, 0x00003301
.long 0x86CC4C48
.long 0xD1FE0012, 0x020A0903
.long 0xD1000012, 0x01322526
.long 0xD1196A04, 0x00010700
.long 0xD0C90048, 0x00003104
.long 0xD0C9004C, 0x00003301
.long 0x86CC4C48
.long 0xD1FE0014, 0x020A0903
.long 0xD1000014, 0x01322926
.long 0xD1196A01, 0x00010301
.long 0xD1340002, 0x00004D02
	;; [unrolled: 26-line block ×4, first 2 shown]
.long 0xD3D8400B, 0x18000128
.long 0xD3D8400D, 0x1800012C
	;; [unrolled: 1-line block ×14, first 2 shown]
.long 0xBF800001
.long 0xE0701000, 0x80040706
.long 0xE0701000, 0x80040908
	;; [unrolled: 1-line block ×16, first 2 shown]
.long 0xBF800000
.long 0x7E4C02FF, 0x80000000
.long 0xD1196A01, 0x00011B01
.long 0x92488D26
.long 0xD1340002, 0x00009102
.long 0x92488D24
.long 0xD1340003, 0x00009103
.long 0xD0C90048, 0x00003100
.long 0xD0C9004C, 0x00003301
.long 0x86CC4C48
.long 0xD1FE0006, 0x020A0103
.long 0xD1000006, 0x01320D26
.long 0xD1196A04, 0x00010300
.long 0xD0C90048, 0x00003104
.long 0xD0C9004C, 0x00003301
.long 0x86CC4C48
.long 0xD1FE0008, 0x020A0903
.long 0xD1000008, 0x01321126
.long 0xD1196A04, 0x00010500
.long 0xD0C90048, 0x00003104
.long 0xD0C9004C, 0x00003301
.long 0x86CC4C48
.long 0xD1FE000A, 0x020A0903
.long 0xD100000A, 0x01321526
.long 0xD1196A04, 0x00010700
.long 0xD0C90048, 0x00003104
.long 0xD0C9004C, 0x00003301
.long 0x86CC4C48
.long 0xD1FE000C, 0x020A0903
.long 0xD100000C, 0x01321926
.long 0xD1196A01, 0x00010301
.long 0xD1340002, 0x00004D02
.long 0xD1340003, 0x00004903
.long 0xD0C90048, 0x00003100
.long 0xD0C9004C, 0x00003301
.long 0x86CC4C48
.long 0xD1FE000E, 0x020A0103
.long 0xD100000E, 0x01321D26
.long 0xD1196A04, 0x00010300
.long 0xD0C90048, 0x00003104
.long 0xD0C9004C, 0x00003301
.long 0x86CC4C48
.long 0xD1FE0010, 0x020A0903
.long 0xD1000010, 0x01322126
.long 0xD1196A04, 0x00010500
.long 0xD0C90048, 0x00003104
.long 0xD0C9004C, 0x00003301
.long 0x86CC4C48
.long 0xD1FE0012, 0x020A0903
.long 0xD1000012, 0x01322526
.long 0xD1196A04, 0x00010700
.long 0xD0C90048, 0x00003104
.long 0xD0C9004C, 0x00003301
.long 0x86CC4C48
.long 0xD1FE0014, 0x020A0903
.long 0xD1000014, 0x01322926
.long 0xD1196A01, 0x00010301
.long 0xD1340002, 0x00004D02
	;; [unrolled: 26-line block ×4, first 2 shown]
.long 0xD3D8400B, 0x18000138
.long 0xD3D8400D, 0x1800013C
	;; [unrolled: 1-line block ×14, first 2 shown]
.long 0xBF800001
.long 0xE0701000, 0x80040706
.long 0xE0701000, 0x80040908
	;; [unrolled: 1-line block ×16, first 2 shown]
.long 0xBF800000
.long 0x7E4C02FF, 0x80000000
.long 0xD1196A01, 0x00011B01
.long 0x92488D26
.long 0xD1340002, 0x00009102
.long 0x92488D24
.long 0xD1340003, 0x00009103
.long 0xD0C90048, 0x00003100
.long 0xD0C9004C, 0x00003301
.long 0x86CC4C48
.long 0xD1FE0006, 0x020A0103
.long 0xD1000006, 0x01320D26
.long 0xD1196A04, 0x00010300
.long 0xD0C90048, 0x00003104
.long 0xD0C9004C, 0x00003301
.long 0x86CC4C48
.long 0xD1FE0008, 0x020A0903
.long 0xD1000008, 0x01321126
.long 0xD1196A04, 0x00010500
.long 0xD0C90048, 0x00003104
.long 0xD0C9004C, 0x00003301
.long 0x86CC4C48
.long 0xD1FE000A, 0x020A0903
.long 0xD100000A, 0x01321526
.long 0xD1196A04, 0x00010700
.long 0xD0C90048, 0x00003104
.long 0xD0C9004C, 0x00003301
.long 0x86CC4C48
.long 0xD1FE000C, 0x020A0903
.long 0xD100000C, 0x01321926
.long 0xD1196A01, 0x00010301
.long 0xD1340002, 0x00004D02
.long 0xD1340003, 0x00004903
.long 0xD0C90048, 0x00003100
.long 0xD0C9004C, 0x00003301
.long 0x86CC4C48
.long 0xD1FE000E, 0x020A0103
.long 0xD100000E, 0x01321D26
.long 0xD1196A04, 0x00010300
.long 0xD0C90048, 0x00003104
.long 0xD0C9004C, 0x00003301
.long 0x86CC4C48
.long 0xD1FE0010, 0x020A0903
.long 0xD1000010, 0x01322126
.long 0xD1196A04, 0x00010500
.long 0xD0C90048, 0x00003104
.long 0xD0C9004C, 0x00003301
.long 0x86CC4C48
.long 0xD1FE0012, 0x020A0903
.long 0xD1000012, 0x01322526
.long 0xD1196A04, 0x00010700
.long 0xD0C90048, 0x00003104
.long 0xD0C9004C, 0x00003301
.long 0x86CC4C48
.long 0xD1FE0014, 0x020A0903
.long 0xD1000014, 0x01322926
.long 0xD1196A01, 0x00010301
.long 0xD1340002, 0x00004D02
	;; [unrolled: 26-line block ×4, first 2 shown]
.long 0xD3D8400B, 0x18000148
.long 0xD3D8400D, 0x1800014C
	;; [unrolled: 1-line block ×14, first 2 shown]
.long 0xBF800001
.long 0xE0701000, 0x80040706
.long 0xE0701000, 0x80040908
	;; [unrolled: 1-line block ×16, first 2 shown]
.long 0xBF800000
.long 0x7E4C02FF, 0x80000000
.long 0xD1196A01, 0x00011B01
.long 0x92488D26
.long 0xD1340002, 0x00009102
.long 0x92488D24
.long 0xD1340003, 0x00009103
.long 0xD0C90048, 0x00003100
.long 0xD0C9004C, 0x00003301
.long 0x86CC4C48
.long 0xD1FE0006, 0x020A0103
.long 0xD1000006, 0x01320D26
.long 0xD1196A04, 0x00010300
.long 0xD0C90048, 0x00003104
.long 0xD0C9004C, 0x00003301
.long 0x86CC4C48
.long 0xD1FE0008, 0x020A0903
.long 0xD1000008, 0x01321126
.long 0xD1196A04, 0x00010500
.long 0xD0C90048, 0x00003104
.long 0xD0C9004C, 0x00003301
.long 0x86CC4C48
.long 0xD1FE000A, 0x020A0903
.long 0xD100000A, 0x01321526
.long 0xD1196A04, 0x00010700
.long 0xD0C90048, 0x00003104
.long 0xD0C9004C, 0x00003301
.long 0x86CC4C48
.long 0xD1FE000C, 0x020A0903
.long 0xD100000C, 0x01321926
.long 0xD1196A01, 0x00010301
.long 0xD1340002, 0x00004D02
.long 0xD1340003, 0x00004903
.long 0xD0C90048, 0x00003100
.long 0xD0C9004C, 0x00003301
.long 0x86CC4C48
.long 0xD1FE000E, 0x020A0103
.long 0xD100000E, 0x01321D26
.long 0xD1196A04, 0x00010300
.long 0xD0C90048, 0x00003104
.long 0xD0C9004C, 0x00003301
.long 0x86CC4C48
.long 0xD1FE0010, 0x020A0903
.long 0xD1000010, 0x01322126
.long 0xD1196A04, 0x00010500
.long 0xD0C90048, 0x00003104
.long 0xD0C9004C, 0x00003301
.long 0x86CC4C48
.long 0xD1FE0012, 0x020A0903
.long 0xD1000012, 0x01322526
.long 0xD1196A04, 0x00010700
.long 0xD0C90048, 0x00003104
.long 0xD0C9004C, 0x00003301
.long 0x86CC4C48
.long 0xD1FE0014, 0x020A0903
.long 0xD1000014, 0x01322926
.long 0xD1196A01, 0x00010301
.long 0xD1340002, 0x00004D02
	;; [unrolled: 26-line block ×4, first 2 shown]
.long 0xD3D8400B, 0x18000158
.long 0xD3D8400D, 0x1800015C
	;; [unrolled: 1-line block ×14, first 2 shown]
.long 0xBF800001
.long 0xE0701000, 0x80040706
.long 0xE0701000, 0x80040908
	;; [unrolled: 1-line block ×16, first 2 shown]
.long 0xBF800000
.long 0x7E4C02FF, 0x80000000
.long 0xD1196A01, 0x00011B01
.long 0x92488D26
.long 0xD1340002, 0x00009102
.long 0x92488D24
.long 0xD1340003, 0x00009103
.long 0xD0C90048, 0x00003100
.long 0xD0C9004C, 0x00003301
.long 0x86CC4C48
.long 0xD1FE0006, 0x020A0103
.long 0xD1000006, 0x01320D26
.long 0xD1196A04, 0x00010300
.long 0xD0C90048, 0x00003104
.long 0xD0C9004C, 0x00003301
.long 0x86CC4C48
.long 0xD1FE0008, 0x020A0903
.long 0xD1000008, 0x01321126
.long 0xD1196A04, 0x00010500
.long 0xD0C90048, 0x00003104
.long 0xD0C9004C, 0x00003301
.long 0x86CC4C48
.long 0xD1FE000A, 0x020A0903
.long 0xD100000A, 0x01321526
.long 0xD1196A04, 0x00010700
.long 0xD0C90048, 0x00003104
.long 0xD0C9004C, 0x00003301
.long 0x86CC4C48
.long 0xD1FE000C, 0x020A0903
.long 0xD100000C, 0x01321926
.long 0xD1196A01, 0x00010301
.long 0xD1340002, 0x00004D02
.long 0xD1340003, 0x00004903
.long 0xD0C90048, 0x00003100
.long 0xD0C9004C, 0x00003301
.long 0x86CC4C48
.long 0xD1FE000E, 0x020A0103
.long 0xD100000E, 0x01321D26
.long 0xD1196A04, 0x00010300
.long 0xD0C90048, 0x00003104
.long 0xD0C9004C, 0x00003301
.long 0x86CC4C48
.long 0xD1FE0010, 0x020A0903
.long 0xD1000010, 0x01322126
.long 0xD1196A04, 0x00010500
.long 0xD0C90048, 0x00003104
.long 0xD0C9004C, 0x00003301
.long 0x86CC4C48
.long 0xD1FE0012, 0x020A0903
.long 0xD1000012, 0x01322526
.long 0xD1196A04, 0x00010700
.long 0xD0C90048, 0x00003104
.long 0xD0C9004C, 0x00003301
.long 0x86CC4C48
.long 0xD1FE0014, 0x020A0903
.long 0xD1000014, 0x01322926
.long 0xD1196A01, 0x00010301
.long 0xD1340002, 0x00004D02
	;; [unrolled: 26-line block ×4, first 2 shown]
.long 0xD3D8400B, 0x18000168
.long 0xD3D8400D, 0x1800016C
	;; [unrolled: 1-line block ×14, first 2 shown]
.long 0xBF800001
.long 0xE0701000, 0x80040706
.long 0xE0701000, 0x80040908
	;; [unrolled: 1-line block ×16, first 2 shown]
.long 0xBF800000
.long 0x7E4C02FF, 0x80000000
.long 0xD1196A01, 0x00011B01
.long 0x92488D26
.long 0xD1340002, 0x00009102
.long 0x92488D24
.long 0xD1340003, 0x00009103
.long 0xD0C90048, 0x00003100
.long 0xD0C9004C, 0x00003301
.long 0x86CC4C48
.long 0xD1FE0006, 0x020A0103
.long 0xD1000006, 0x01320D26
.long 0xD1196A04, 0x00010300
.long 0xD0C90048, 0x00003104
.long 0xD0C9004C, 0x00003301
.long 0x86CC4C48
.long 0xD1FE0008, 0x020A0903
.long 0xD1000008, 0x01321126
.long 0xD1196A04, 0x00010500
.long 0xD0C90048, 0x00003104
.long 0xD0C9004C, 0x00003301
.long 0x86CC4C48
.long 0xD1FE000A, 0x020A0903
.long 0xD100000A, 0x01321526
.long 0xD1196A04, 0x00010700
.long 0xD0C90048, 0x00003104
.long 0xD0C9004C, 0x00003301
.long 0x86CC4C48
.long 0xD1FE000C, 0x020A0903
.long 0xD100000C, 0x01321926
.long 0xD1196A01, 0x00010301
.long 0xD1340002, 0x00004D02
.long 0xD1340003, 0x00004903
.long 0xD0C90048, 0x00003100
.long 0xD0C9004C, 0x00003301
.long 0x86CC4C48
.long 0xD1FE000E, 0x020A0103
.long 0xD100000E, 0x01321D26
.long 0xD1196A04, 0x00010300
.long 0xD0C90048, 0x00003104
.long 0xD0C9004C, 0x00003301
.long 0x86CC4C48
.long 0xD1FE0010, 0x020A0903
.long 0xD1000010, 0x01322126
.long 0xD1196A04, 0x00010500
.long 0xD0C90048, 0x00003104
.long 0xD0C9004C, 0x00003301
.long 0x86CC4C48
.long 0xD1FE0012, 0x020A0903
.long 0xD1000012, 0x01322526
.long 0xD1196A04, 0x00010700
.long 0xD0C90048, 0x00003104
.long 0xD0C9004C, 0x00003301
.long 0x86CC4C48
.long 0xD1FE0014, 0x020A0903
.long 0xD1000014, 0x01322926
.long 0xD1196A01, 0x00010301
.long 0xD1340002, 0x00004D02
	;; [unrolled: 26-line block ×4, first 2 shown]
.long 0xD3D8400B, 0x18000178
.long 0xD3D8400D, 0x1800017C
	;; [unrolled: 1-line block ×14, first 2 shown]
.long 0xBF800001
.long 0xE0701000, 0x80040706
.long 0xE0701000, 0x80040908
	;; [unrolled: 1-line block ×16, first 2 shown]
.long 0xBF800000
.long 0x7E4C02FF, 0x80000000
.long 0xD1196A01, 0x00011B01
.long 0x92488D26
.long 0xD1340002, 0x00009102
.long 0x92488D24
.long 0xD1340003, 0x00009103
.long 0xD0C90048, 0x00003100
.long 0xD0C9004C, 0x00003301
.long 0x86CC4C48
.long 0xD1FE0006, 0x020A0103
.long 0xD1000006, 0x01320D26
.long 0xD1196A04, 0x00010300
.long 0xD0C90048, 0x00003104
.long 0xD0C9004C, 0x00003301
.long 0x86CC4C48
.long 0xD1FE0008, 0x020A0903
.long 0xD1000008, 0x01321126
.long 0xD1196A04, 0x00010500
.long 0xD0C90048, 0x00003104
.long 0xD0C9004C, 0x00003301
.long 0x86CC4C48
.long 0xD1FE000A, 0x020A0903
.long 0xD100000A, 0x01321526
.long 0xD1196A04, 0x00010700
.long 0xD0C90048, 0x00003104
.long 0xD0C9004C, 0x00003301
.long 0x86CC4C48
.long 0xD1FE000C, 0x020A0903
.long 0xD100000C, 0x01321926
.long 0xD1196A01, 0x00010301
.long 0xD1340002, 0x00004D02
.long 0xD1340003, 0x00004903
.long 0xD0C90048, 0x00003100
.long 0xD0C9004C, 0x00003301
.long 0x86CC4C48
.long 0xD1FE000E, 0x020A0103
.long 0xD100000E, 0x01321D26
.long 0xD1196A04, 0x00010300
.long 0xD0C90048, 0x00003104
.long 0xD0C9004C, 0x00003301
.long 0x86CC4C48
.long 0xD1FE0010, 0x020A0903
.long 0xD1000010, 0x01322126
.long 0xD1196A04, 0x00010500
.long 0xD0C90048, 0x00003104
.long 0xD0C9004C, 0x00003301
.long 0x86CC4C48
.long 0xD1FE0012, 0x020A0903
.long 0xD1000012, 0x01322526
.long 0xD1196A04, 0x00010700
.long 0xD0C90048, 0x00003104
.long 0xD0C9004C, 0x00003301
.long 0x86CC4C48
.long 0xD1FE0014, 0x020A0903
.long 0xD1000014, 0x01322926
.long 0xD1196A01, 0x00010301
.long 0xD1340002, 0x00004D02
	;; [unrolled: 26-line block ×4, first 2 shown]
.long 0xD3D8400B, 0x18000188
.long 0xD3D8400D, 0x1800018C
.long 0xD3D8400F, 0x18000181
.long 0xD3D84011, 0x18000185
.long 0xD3D84013, 0x18000189
.long 0xD3D84015, 0x1800018D
.long 0xD3D84017, 0x18000182
.long 0xD3D84019, 0x18000186
.long 0xD3D8401B, 0x1800018A
.long 0xD3D8401D, 0x1800018E
.long 0xD3D8401F, 0x18000183
.long 0xD3D84021, 0x18000187
.long 0xD3D84023, 0x1800018B
.long 0xD3D84025, 0x1800018F
.long 0xBF800001
.long 0xE0701000, 0x80040706
.long 0xE0701000, 0x80040908
	;; [unrolled: 1-line block ×16, first 2 shown]
.long 0xBF800000
.long 0x7E4C02FF, 0x80000000
.long 0xD1196A01, 0x00011B01
.long 0x92488D26
.long 0xD1340002, 0x00009102
.long 0x92488D24
.long 0xD1340003, 0x00009103
.long 0xD0C90048, 0x00003100
.long 0xD0C9004C, 0x00003301
.long 0x86CC4C48
.long 0xD1FE0006, 0x020A0103
.long 0xD1000006, 0x01320D26
.long 0xD1196A04, 0x00010300
.long 0xD0C90048, 0x00003104
.long 0xD0C9004C, 0x00003301
.long 0x86CC4C48
.long 0xD1FE0008, 0x020A0903
.long 0xD1000008, 0x01321126
.long 0xD1196A04, 0x00010500
.long 0xD0C90048, 0x00003104
.long 0xD0C9004C, 0x00003301
.long 0x86CC4C48
.long 0xD1FE000A, 0x020A0903
.long 0xD100000A, 0x01321526
.long 0xD1196A04, 0x00010700
.long 0xD0C90048, 0x00003104
.long 0xD0C9004C, 0x00003301
.long 0x86CC4C48
.long 0xD1FE000C, 0x020A0903
.long 0xD100000C, 0x01321926
.long 0xD1196A01, 0x00010301
.long 0xD1340002, 0x00004D02
.long 0xD1340003, 0x00004903
.long 0xD0C90048, 0x00003100
.long 0xD0C9004C, 0x00003301
.long 0x86CC4C48
.long 0xD1FE000E, 0x020A0103
.long 0xD100000E, 0x01321D26
.long 0xD1196A04, 0x00010300
.long 0xD0C90048, 0x00003104
.long 0xD0C9004C, 0x00003301
.long 0x86CC4C48
.long 0xD1FE0010, 0x020A0903
.long 0xD1000010, 0x01322126
.long 0xD1196A04, 0x00010500
.long 0xD0C90048, 0x00003104
.long 0xD0C9004C, 0x00003301
.long 0x86CC4C48
.long 0xD1FE0012, 0x020A0903
.long 0xD1000012, 0x01322526
.long 0xD1196A04, 0x00010700
.long 0xD0C90048, 0x00003104
.long 0xD0C9004C, 0x00003301
.long 0x86CC4C48
.long 0xD1FE0014, 0x020A0903
.long 0xD1000014, 0x01322926
.long 0xD1196A01, 0x00010301
.long 0xD1340002, 0x00004D02
.long 0xD1340003, 0x00004903
.long 0xD0C90048, 0x00003100
.long 0xD0C9004C, 0x00003301
.long 0x86CC4C48
.long 0xD1FE0016, 0x020A0103
.long 0xD1000016, 0x01322D26
.long 0xD1196A04, 0x00010300
.long 0xD0C90048, 0x00003104
.long 0xD0C9004C, 0x00003301
.long 0x86CC4C48
.long 0xD1FE0018, 0x020A0903
.long 0xD1000018, 0x01323126
.long 0xD1196A04, 0x00010500
.long 0xD0C90048, 0x00003104
.long 0xD0C9004C, 0x00003301
.long 0x86CC4C48
.long 0xD1FE001A, 0x020A0903
.long 0xD100001A, 0x01323526
.long 0xD1196A04, 0x00010700
.long 0xD0C90048, 0x00003104
.long 0xD0C9004C, 0x00003301
.long 0x86CC4C48
.long 0xD1FE001C, 0x020A0903
.long 0xD100001C, 0x01323926
.long 0xD1196A01, 0x00010301
.long 0xD1340002, 0x00004D02
.long 0xD1340003, 0x00004903
.long 0xD0C90048, 0x00003100
.long 0xD0C9004C, 0x00003301
.long 0x86CC4C48
.long 0xD1FE001E, 0x020A0103
.long 0xD100001E, 0x01323D26
.long 0xD1196A04, 0x00010300
.long 0xD0C90048, 0x00003104
.long 0xD0C9004C, 0x00003301
.long 0x86CC4C48
.long 0xD1FE0020, 0x020A0903
.long 0xD1000020, 0x01324126
.long 0xD1196A04, 0x00010500
.long 0xD0C90048, 0x00003104
.long 0xD0C9004C, 0x00003301
.long 0x86CC4C48
.long 0xD1FE0022, 0x020A0903
.long 0xD1000022, 0x01324526
.long 0xD1196A04, 0x00010700
.long 0xD0C90048, 0x00003104
.long 0xD0C9004C, 0x00003301
.long 0x86CC4C48
.long 0xD1FE0024, 0x020A0903
.long 0xD1000024, 0x01324926
.long 0xD3D84007, 0x18000190
.long 0xD3D84009, 0x18000194
.long 0xD3D8400B, 0x18000198
.long 0xD3D8400D, 0x1800019C
	;; [unrolled: 1-line block ×14, first 2 shown]
.long 0xBF800001
.long 0xE0701000, 0x80040706
.long 0xE0701000, 0x80040908
	;; [unrolled: 1-line block ×16, first 2 shown]
.long 0xBF800000
.long 0x7E4C02FF, 0x80000000
.long 0xD1196A01, 0x00011B01
.long 0x92488D26
.long 0xD1340002, 0x00009102
.long 0x92488D24
.long 0xD1340003, 0x00009103
.long 0xD0C90048, 0x00003100
.long 0xD0C9004C, 0x00003301
.long 0x86CC4C48
.long 0xD1FE0006, 0x020A0103
.long 0xD1000006, 0x01320D26
.long 0xD1196A04, 0x00010300
.long 0xD0C90048, 0x00003104
.long 0xD0C9004C, 0x00003301
.long 0x86CC4C48
.long 0xD1FE0008, 0x020A0903
.long 0xD1000008, 0x01321126
.long 0xD1196A04, 0x00010500
.long 0xD0C90048, 0x00003104
.long 0xD0C9004C, 0x00003301
.long 0x86CC4C48
.long 0xD1FE000A, 0x020A0903
.long 0xD100000A, 0x01321526
.long 0xD1196A04, 0x00010700
.long 0xD0C90048, 0x00003104
.long 0xD0C9004C, 0x00003301
.long 0x86CC4C48
.long 0xD1FE000C, 0x020A0903
.long 0xD100000C, 0x01321926
.long 0xD1196A01, 0x00010301
.long 0xD1340002, 0x00004D02
.long 0xD1340003, 0x00004903
.long 0xD0C90048, 0x00003100
.long 0xD0C9004C, 0x00003301
.long 0x86CC4C48
.long 0xD1FE000E, 0x020A0103
.long 0xD100000E, 0x01321D26
.long 0xD1196A04, 0x00010300
.long 0xD0C90048, 0x00003104
.long 0xD0C9004C, 0x00003301
.long 0x86CC4C48
.long 0xD1FE0010, 0x020A0903
.long 0xD1000010, 0x01322126
.long 0xD1196A04, 0x00010500
.long 0xD0C90048, 0x00003104
.long 0xD0C9004C, 0x00003301
.long 0x86CC4C48
.long 0xD1FE0012, 0x020A0903
.long 0xD1000012, 0x01322526
.long 0xD1196A04, 0x00010700
.long 0xD0C90048, 0x00003104
.long 0xD0C9004C, 0x00003301
.long 0x86CC4C48
.long 0xD1FE0014, 0x020A0903
.long 0xD1000014, 0x01322926
.long 0xD1196A01, 0x00010301
.long 0xD1340002, 0x00004D02
	;; [unrolled: 26-line block ×4, first 2 shown]
.long 0xD3D8400B, 0x180001A8
.long 0xD3D8400D, 0x180001AC
	;; [unrolled: 1-line block ×14, first 2 shown]
.long 0xBF800001
.long 0xE0701000, 0x80040706
.long 0xE0701000, 0x80040908
.long 0xE0701000, 0x80040B0A
.long 0xE0701000, 0x80040D0C
.long 0xE0701000, 0x80040F0E
.long 0xE0701000, 0x80041110
.long 0xE0701000, 0x80041312
.long 0xE0701000, 0x80041514
.long 0xE0701000, 0x80041716
.long 0xE0701000, 0x80041918
.long 0xE0701000, 0x80041B1A
.long 0xE0701000, 0x80041D1C
.long 0xE0701000, 0x80041F1E
.long 0xE0701000, 0x80042120
.long 0xE0701000, 0x80042322
.long 0xE0701000, 0x80042524
.long 0xBF800000
.long 0x7E4C02FF, 0x80000000
.long 0xD1196A01, 0x00011B01
.long 0x92488D26
.long 0xD1340002, 0x00009102
.long 0x92488D24
.long 0xD1340003, 0x00009103
.long 0xD0C90048, 0x00003100
.long 0xD0C9004C, 0x00003301
.long 0x86CC4C48
.long 0xD1FE0006, 0x020A0103
.long 0xD1000006, 0x01320D26
.long 0xD1196A04, 0x00010300
.long 0xD0C90048, 0x00003104
.long 0xD0C9004C, 0x00003301
.long 0x86CC4C48
.long 0xD1FE0008, 0x020A0903
.long 0xD1000008, 0x01321126
.long 0xD1196A04, 0x00010500
.long 0xD0C90048, 0x00003104
.long 0xD0C9004C, 0x00003301
.long 0x86CC4C48
.long 0xD1FE000A, 0x020A0903
.long 0xD100000A, 0x01321526
.long 0xD1196A04, 0x00010700
.long 0xD0C90048, 0x00003104
.long 0xD0C9004C, 0x00003301
.long 0x86CC4C48
.long 0xD1FE000C, 0x020A0903
.long 0xD100000C, 0x01321926
.long 0xD1196A01, 0x00010301
.long 0xD1340002, 0x00004D02
.long 0xD1340003, 0x00004903
.long 0xD0C90048, 0x00003100
.long 0xD0C9004C, 0x00003301
.long 0x86CC4C48
.long 0xD1FE000E, 0x020A0103
.long 0xD100000E, 0x01321D26
.long 0xD1196A04, 0x00010300
.long 0xD0C90048, 0x00003104
.long 0xD0C9004C, 0x00003301
.long 0x86CC4C48
.long 0xD1FE0010, 0x020A0903
.long 0xD1000010, 0x01322126
.long 0xD1196A04, 0x00010500
.long 0xD0C90048, 0x00003104
.long 0xD0C9004C, 0x00003301
.long 0x86CC4C48
.long 0xD1FE0012, 0x020A0903
.long 0xD1000012, 0x01322526
.long 0xD1196A04, 0x00010700
.long 0xD0C90048, 0x00003104
.long 0xD0C9004C, 0x00003301
.long 0x86CC4C48
.long 0xD1FE0014, 0x020A0903
.long 0xD1000014, 0x01322926
.long 0xD1196A01, 0x00010301
.long 0xD1340002, 0x00004D02
	;; [unrolled: 26-line block ×4, first 2 shown]
.long 0xD3D8400B, 0x180001B8
.long 0xD3D8400D, 0x180001BC
.long 0xD3D8400F, 0x180001B1
.long 0xD3D84011, 0x180001B5
.long 0xD3D84013, 0x180001B9
.long 0xD3D84015, 0x180001BD
.long 0xD3D84017, 0x180001B2
.long 0xD3D84019, 0x180001B6
.long 0xD3D8401B, 0x180001BA
.long 0xD3D8401D, 0x180001BE
.long 0xD3D8401F, 0x180001B3
.long 0xD3D84021, 0x180001B7
.long 0xD3D84023, 0x180001BB
.long 0xD3D84025, 0x180001BF
.long 0xBF800001
.long 0xE0701000, 0x80040706
.long 0xE0701000, 0x80040908
	;; [unrolled: 1-line block ×16, first 2 shown]
.long 0xBF800000
.long 0x7E4C02FF, 0x80000000
.long 0xD1196A01, 0x00011B01
.long 0x92488D26
.long 0xD1340002, 0x00009102
.long 0x92488D24
.long 0xD1340003, 0x00009103
.long 0xD0C90048, 0x00003100
.long 0xD0C9004C, 0x00003301
.long 0x86CC4C48
.long 0xD1FE0006, 0x020A0103
.long 0xD1000006, 0x01320D26
.long 0xD1196A04, 0x00010300
.long 0xD0C90048, 0x00003104
.long 0xD0C9004C, 0x00003301
.long 0x86CC4C48
.long 0xD1FE0008, 0x020A0903
.long 0xD1000008, 0x01321126
.long 0xD1196A04, 0x00010500
.long 0xD0C90048, 0x00003104
.long 0xD0C9004C, 0x00003301
.long 0x86CC4C48
.long 0xD1FE000A, 0x020A0903
.long 0xD100000A, 0x01321526
.long 0xD1196A04, 0x00010700
.long 0xD0C90048, 0x00003104
.long 0xD0C9004C, 0x00003301
.long 0x86CC4C48
.long 0xD1FE000C, 0x020A0903
.long 0xD100000C, 0x01321926
.long 0xD1196A01, 0x00010301
.long 0xD1340002, 0x00004D02
.long 0xD1340003, 0x00004903
.long 0xD0C90048, 0x00003100
.long 0xD0C9004C, 0x00003301
.long 0x86CC4C48
.long 0xD1FE000E, 0x020A0103
.long 0xD100000E, 0x01321D26
.long 0xD1196A04, 0x00010300
.long 0xD0C90048, 0x00003104
.long 0xD0C9004C, 0x00003301
.long 0x86CC4C48
.long 0xD1FE0010, 0x020A0903
.long 0xD1000010, 0x01322126
.long 0xD1196A04, 0x00010500
.long 0xD0C90048, 0x00003104
.long 0xD0C9004C, 0x00003301
.long 0x86CC4C48
.long 0xD1FE0012, 0x020A0903
.long 0xD1000012, 0x01322526
.long 0xD1196A04, 0x00010700
.long 0xD0C90048, 0x00003104
.long 0xD0C9004C, 0x00003301
.long 0x86CC4C48
.long 0xD1FE0014, 0x020A0903
.long 0xD1000014, 0x01322926
.long 0xD1196A01, 0x00010301
.long 0xD1340002, 0x00004D02
	;; [unrolled: 26-line block ×4, first 2 shown]
.long 0xD3D8400B, 0x180001C8
.long 0xD3D8400D, 0x180001CC
	;; [unrolled: 1-line block ×14, first 2 shown]
.long 0xBF800001
.long 0xE0701000, 0x80040706
.long 0xE0701000, 0x80040908
	;; [unrolled: 1-line block ×16, first 2 shown]
.long 0xBF800000
.long 0x7E4C02FF, 0x80000000
.long 0xD1196A01, 0x00011B01
.long 0x92488D26
.long 0xD1340002, 0x00009102
.long 0x92488D24
.long 0xD1340003, 0x00009103
.long 0xD0C90048, 0x00003100
.long 0xD0C9004C, 0x00003301
.long 0x86CC4C48
.long 0xD1FE0006, 0x020A0103
.long 0xD1000006, 0x01320D26
.long 0xD1196A04, 0x00010300
.long 0xD0C90048, 0x00003104
.long 0xD0C9004C, 0x00003301
.long 0x86CC4C48
.long 0xD1FE0008, 0x020A0903
.long 0xD1000008, 0x01321126
.long 0xD1196A04, 0x00010500
.long 0xD0C90048, 0x00003104
.long 0xD0C9004C, 0x00003301
.long 0x86CC4C48
.long 0xD1FE000A, 0x020A0903
.long 0xD100000A, 0x01321526
.long 0xD1196A04, 0x00010700
.long 0xD0C90048, 0x00003104
.long 0xD0C9004C, 0x00003301
.long 0x86CC4C48
.long 0xD1FE000C, 0x020A0903
.long 0xD100000C, 0x01321926
.long 0xD1196A01, 0x00010301
.long 0xD1340002, 0x00004D02
.long 0xD1340003, 0x00004903
.long 0xD0C90048, 0x00003100
.long 0xD0C9004C, 0x00003301
.long 0x86CC4C48
.long 0xD1FE000E, 0x020A0103
.long 0xD100000E, 0x01321D26
.long 0xD1196A04, 0x00010300
.long 0xD0C90048, 0x00003104
.long 0xD0C9004C, 0x00003301
.long 0x86CC4C48
.long 0xD1FE0010, 0x020A0903
.long 0xD1000010, 0x01322126
.long 0xD1196A04, 0x00010500
.long 0xD0C90048, 0x00003104
.long 0xD0C9004C, 0x00003301
.long 0x86CC4C48
.long 0xD1FE0012, 0x020A0903
.long 0xD1000012, 0x01322526
.long 0xD1196A04, 0x00010700
.long 0xD0C90048, 0x00003104
.long 0xD0C9004C, 0x00003301
.long 0x86CC4C48
.long 0xD1FE0014, 0x020A0903
.long 0xD1000014, 0x01322926
.long 0xD1196A01, 0x00010301
.long 0xD1340002, 0x00004D02
	;; [unrolled: 26-line block ×4, first 2 shown]
.long 0xD3D8400B, 0x180001D8
.long 0xD3D8400D, 0x180001DC
	;; [unrolled: 1-line block ×14, first 2 shown]
.long 0xBF800001
.long 0xE0701000, 0x80040706
.long 0xE0701000, 0x80040908
	;; [unrolled: 1-line block ×16, first 2 shown]
.long 0xBF800000
.long 0x7E4C02FF, 0x80000000
.long 0xD1196A01, 0x00011B01
.long 0x92488D26
.long 0xD1340002, 0x00009102
.long 0x92488D24
.long 0xD1340003, 0x00009103
.long 0xD0C90048, 0x00003100
.long 0xD0C9004C, 0x00003301
.long 0x86CC4C48
.long 0xD1FE0006, 0x020A0103
.long 0xD1000006, 0x01320D26
.long 0xD1196A04, 0x00010300
.long 0xD0C90048, 0x00003104
.long 0xD0C9004C, 0x00003301
.long 0x86CC4C48
.long 0xD1FE0008, 0x020A0903
.long 0xD1000008, 0x01321126
.long 0xD1196A04, 0x00010500
.long 0xD0C90048, 0x00003104
.long 0xD0C9004C, 0x00003301
.long 0x86CC4C48
.long 0xD1FE000A, 0x020A0903
.long 0xD100000A, 0x01321526
.long 0xD1196A04, 0x00010700
.long 0xD0C90048, 0x00003104
.long 0xD0C9004C, 0x00003301
.long 0x86CC4C48
.long 0xD1FE000C, 0x020A0903
.long 0xD100000C, 0x01321926
.long 0xD1196A01, 0x00010301
.long 0xD1340002, 0x00004D02
.long 0xD1340003, 0x00004903
.long 0xD0C90048, 0x00003100
.long 0xD0C9004C, 0x00003301
.long 0x86CC4C48
.long 0xD1FE000E, 0x020A0103
.long 0xD100000E, 0x01321D26
.long 0xD1196A04, 0x00010300
.long 0xD0C90048, 0x00003104
.long 0xD0C9004C, 0x00003301
.long 0x86CC4C48
.long 0xD1FE0010, 0x020A0903
.long 0xD1000010, 0x01322126
.long 0xD1196A04, 0x00010500
.long 0xD0C90048, 0x00003104
.long 0xD0C9004C, 0x00003301
.long 0x86CC4C48
.long 0xD1FE0012, 0x020A0903
.long 0xD1000012, 0x01322526
.long 0xD1196A04, 0x00010700
.long 0xD0C90048, 0x00003104
.long 0xD0C9004C, 0x00003301
.long 0x86CC4C48
.long 0xD1FE0014, 0x020A0903
.long 0xD1000014, 0x01322926
.long 0xD1196A01, 0x00010301
.long 0xD1340002, 0x00004D02
	;; [unrolled: 26-line block ×4, first 2 shown]
.long 0xD3D8400B, 0x180001E8
.long 0xD3D8400D, 0x180001EC
	;; [unrolled: 1-line block ×14, first 2 shown]
.long 0xBF800001
.long 0xE0701000, 0x80040706
.long 0xE0701000, 0x80040908
	;; [unrolled: 1-line block ×16, first 2 shown]
.long 0xBF800000
.long 0x7E4C02FF, 0x80000000
.long 0xD1196A01, 0x00011B01
.long 0x92488D26
.long 0xD1340002, 0x00009102
.long 0x92488D24
.long 0xD1340003, 0x00009103
.long 0xD0C90048, 0x00003100
.long 0xD0C9004C, 0x00003301
.long 0x86CC4C48
.long 0xD1FE0006, 0x020A0103
.long 0xD1000006, 0x01320D26
.long 0xD1196A04, 0x00010300
.long 0xD0C90048, 0x00003104
.long 0xD0C9004C, 0x00003301
.long 0x86CC4C48
.long 0xD1FE0008, 0x020A0903
.long 0xD1000008, 0x01321126
.long 0xD1196A04, 0x00010500
.long 0xD0C90048, 0x00003104
.long 0xD0C9004C, 0x00003301
.long 0x86CC4C48
.long 0xD1FE000A, 0x020A0903
.long 0xD100000A, 0x01321526
.long 0xD1196A04, 0x00010700
.long 0xD0C90048, 0x00003104
.long 0xD0C9004C, 0x00003301
.long 0x86CC4C48
.long 0xD1FE000C, 0x020A0903
.long 0xD100000C, 0x01321926
.long 0xD1196A01, 0x00010301
.long 0xD1340002, 0x00004D02
.long 0xD1340003, 0x00004903
.long 0xD0C90048, 0x00003100
.long 0xD0C9004C, 0x00003301
.long 0x86CC4C48
.long 0xD1FE000E, 0x020A0103
.long 0xD100000E, 0x01321D26
.long 0xD1196A04, 0x00010300
.long 0xD0C90048, 0x00003104
.long 0xD0C9004C, 0x00003301
.long 0x86CC4C48
.long 0xD1FE0010, 0x020A0903
.long 0xD1000010, 0x01322126
.long 0xD1196A04, 0x00010500
.long 0xD0C90048, 0x00003104
.long 0xD0C9004C, 0x00003301
.long 0x86CC4C48
.long 0xD1FE0012, 0x020A0903
.long 0xD1000012, 0x01322526
.long 0xD1196A04, 0x00010700
.long 0xD0C90048, 0x00003104
.long 0xD0C9004C, 0x00003301
.long 0x86CC4C48
.long 0xD1FE0014, 0x020A0903
.long 0xD1000014, 0x01322926
.long 0xD1196A01, 0x00010301
.long 0xD1340002, 0x00004D02
	;; [unrolled: 26-line block ×4, first 2 shown]
.long 0xD3D8400B, 0x180001F8
.long 0xD3D8400D, 0x180001FC
	;; [unrolled: 1-line block ×14, first 2 shown]
.long 0xBF800001
.long 0xE0701000, 0x80040706
.long 0xE0701000, 0x80040908
	;; [unrolled: 1-line block ×16, first 2 shown]
.long 0xBF800000
.long 0xBF820000
	;; [unrolled: 1-line block ×3, first 2 shown]
.long 0x814A84FF, 0x0001A254
.long 0x80484A48
.long 0x82498049
	;; [unrolled: 1-line block ×6, first 2 shown]
.long 0xC0020158, 0x00000000
.long 0xBEAF00F2
.long 0xBF128032
	;; [unrolled: 1-line block ×3, first 2 shown]
.long 0xC0020BD9, 0x00000000
.long 0xBEC00034
.long 0xBEC10035
.long 0xBEC300FF, 0x00020000
.long 0xBF128034
.long 0xBF840002
	;; [unrolled: 1-line block ×12, first 2 shown]
.long 0xBEC700FF, 0x00020000
.long 0xBF128036
.long 0xBF840002
	;; [unrolled: 1-line block ×8, first 2 shown]
.long 0x923D02FF, 0x00000100
.long 0x6811063D
.long 0x923D0439
	;; [unrolled: 1-line block ×4, first 2 shown]
.long 0xE0501000, 0x80110408
.long 0x24110682
.long 0xBF8C0F70
.long 0xBF8A0000
.long 0xD81A0000, 0x00000408
.long 0xBF820012
.long 0xB4B80004
.long 0xBF850010
.long 0x92464682
.long 0x923D02FF, 0x00000100
.long 0x6811063D
	;; [unrolled: 5-line block ×4, first 2 shown]
.long 0x7E08022C
.long 0xBF8CC07F
.long 0xD1050004, 0x00000B04
.long 0xD1050004, 0x00005F04
.long 0xBF800000
.long 0x7E580504
	;; [unrolled: 1-line block ×4, first 2 shown]
.long 0x864A18FF, 0x000000FF
.long 0x804B0DC1
.long 0xBF094B02
.long 0x854A804A
.long 0xB54A0000
.long 0xBF850B00
.long 0x864A19FF, 0x000000FF
.long 0x804B0EC1
.long 0xBF094B03
	;; [unrolled: 1-line block ×22, first 2 shown]
.long 0x810584FF, 0x00019B58
.long 0x803E053E
.long 0x823F803F
.long 0xBF820030
.long 0xBEBE1C00
.long 0x810584FF, 0x00019B44
.long 0x803E053E
.long 0x823F803F
.long 0xBF82002A
.long 0xBEBE1C00
	;; [unrolled: 5-line block ×8, first 2 shown]
.long 0x810584FF, 0x00019D98
.long 0x803E053E
.long 0x823F803F
	;; [unrolled: 1-line block ×3, first 2 shown]
.long 0x924A02FF, 0x00000100
.long 0xD135000B, 0x00009500
.long 0x24161682
.long 0xBF8CC07F
	;; [unrolled: 1-line block ×3, first 2 shown]
.long 0xD9FE0000, 0x1000000B
.long 0x24180082
.long 0xE05C1000, 0x8010140C
.long 0xD1FE0009, 0x020A0103
	;; [unrolled: 1-line block ×66, first 2 shown]
.long 0xBF800001
.long 0x0A30302C
	;; [unrolled: 1-line block ×66, first 2 shown]
.long 0xD0CC0034, 0x00010042
.long 0xD1000014, 0x00D228F2
	;; [unrolled: 1-line block ×10, first 2 shown]
.long 0xBEC81E3E
.long 0x7E300304
.long 0x7E320305
.long 0x7E340306
.long 0x7E360307
.long 0xE07C1000, 0x80041809
.long 0xD0CC0034, 0x00010042
.long 0xD1000014, 0x00D228F2
.long 0xD1000015, 0x00D22AF2
.long 0xD3B1401C, 0x18023914
.long 0xD0CC0034, 0x00010042
.long 0xD1000016, 0x00D22CF2
.long 0xD1000017, 0x00D22EF2
.long 0xD3B1401E, 0x18023D16
.long 0xD3B24004, 0x18023910
.long 0xD3B24006, 0x18023D12
.long 0xBEC81E3E
.long 0x7E380304
.long 0x7E3A0305
.long 0x7E3C0306
.long 0x7E3E0307
.long 0x8E4A8224
.long 0x80104A10
.long 0x82118011
.long 0xE07C1000, 0x80041C09
.long 0xD0CC0034, 0x00010042
.long 0xD1000014, 0x00D228F2
.long 0xD1000015, 0x00D22AF2
.long 0xD3B14020, 0x18024114
.long 0xD0CC0034, 0x00010042
.long 0xD1000016, 0x00D22CF2
.long 0xD1000017, 0x00D22EF2
.long 0xD3B14022, 0x18024516
.long 0xD3B24004, 0x18024110
.long 0xD3B24006, 0x18024512
.long 0xBEC81E3E
.long 0x7E400304
.long 0x7E420305
	;; [unrolled: 19-line block ×15, first 2 shown]
.long 0x7EAC0306
.long 0x7EAE0307
	;; [unrolled: 1-line block ×5, first 2 shown]
.long 0xE07C1000, 0x80045409
.long 0xBF800000
.long 0x924A02FF, 0x00000100
.long 0xD135000B, 0x00009500
.long 0x24161682
.long 0xD9FE0000, 0x1000000B
.long 0xE05C1000, 0x8010140C
	;; [unrolled: 1-line block ×66, first 2 shown]
.long 0xBF800001
.long 0x0A30302C
	;; [unrolled: 1-line block ×66, first 2 shown]
.long 0xD0CC0034, 0x00010042
.long 0xD1000014, 0x00D228F2
.long 0xD1000015, 0x00D22AF2
.long 0xD3B14018, 0x18023114
.long 0xD0CC0034, 0x00010042
.long 0xD1000016, 0x00D22CF2
.long 0xD1000017, 0x00D22EF2
.long 0xD3B1401A, 0x18023516
.long 0xD3B24004, 0x18023110
.long 0xD3B24006, 0x18023512
.long 0xBEC81E3E
.long 0x7E300304
.long 0x7E320305
.long 0x7E340306
.long 0x7E360307
.long 0x924AB424
.long 0x80104A10
.long 0x82118011
.long 0xE07C1000, 0x80041809
.long 0xD0CC0034, 0x00010042
.long 0xD1000014, 0x00D228F2
.long 0xD1000015, 0x00D22AF2
.long 0xD3B1401C, 0x18023914
.long 0xD0CC0034, 0x00010042
.long 0xD1000016, 0x00D22CF2
.long 0xD1000017, 0x00D22EF2
.long 0xD3B1401E, 0x18023D16
.long 0xD3B24004, 0x18023910
.long 0xD3B24006, 0x18023D12
.long 0xBEC81E3E
.long 0x7E380304
.long 0x7E3A0305
.long 0x7E3C0306
.long 0x7E3E0307
.long 0x8E4A8224
.long 0x80104A10
.long 0x82118011
.long 0xE07C1000, 0x80041C09
	;; [unrolled: 19-line block ×16, first 2 shown]
.long 0xBF800000
.long 0x924A02FF, 0x00000100
.long 0xD135000B, 0x00009500
.long 0x24161682
.long 0xD9FE0000, 0x1000000B
.long 0xE05C1000, 0x8010140C
	;; [unrolled: 1-line block ×66, first 2 shown]
.long 0xBF800001
.long 0x0A30302C
	;; [unrolled: 1-line block ×66, first 2 shown]
.long 0xD0CC0034, 0x00010042
.long 0xD1000014, 0x00D228F2
.long 0xD1000015, 0x00D22AF2
.long 0xD3B14018, 0x18023114
.long 0xD0CC0034, 0x00010042
.long 0xD1000016, 0x00D22CF2
.long 0xD1000017, 0x00D22EF2
.long 0xD3B1401A, 0x18023516
.long 0xD3B24004, 0x18023110
.long 0xD3B24006, 0x18023512
.long 0xBEC81E3E
.long 0x7E300304
.long 0x7E320305
.long 0x7E340306
.long 0x7E360307
.long 0x924AB424
.long 0x80104A10
.long 0x82118011
.long 0xE07C1000, 0x80041809
.long 0xD0CC0034, 0x00010042
.long 0xD1000014, 0x00D228F2
.long 0xD1000015, 0x00D22AF2
.long 0xD3B1401C, 0x18023914
.long 0xD0CC0034, 0x00010042
.long 0xD1000016, 0x00D22CF2
.long 0xD1000017, 0x00D22EF2
.long 0xD3B1401E, 0x18023D16
.long 0xD3B24004, 0x18023910
.long 0xD3B24006, 0x18023D12
.long 0xBEC81E3E
.long 0x7E380304
.long 0x7E3A0305
.long 0x7E3C0306
.long 0x7E3E0307
.long 0x8E4A8224
.long 0x80104A10
.long 0x82118011
.long 0xE07C1000, 0x80041C09
	;; [unrolled: 19-line block ×16, first 2 shown]
.long 0xBF800000
.long 0x924A02FF, 0x00000100
.long 0xD135000B, 0x00009500
.long 0x24161682
.long 0xD9FE0000, 0x1000000B
.long 0xE05C1000, 0x8010140C
	;; [unrolled: 1-line block ×66, first 2 shown]
.long 0xBF800001
.long 0x0A30302C
	;; [unrolled: 1-line block ×66, first 2 shown]
.long 0xD0CC0034, 0x00010042
.long 0xD1000014, 0x00D228F2
.long 0xD1000015, 0x00D22AF2
.long 0xD3B14018, 0x18023114
.long 0xD0CC0034, 0x00010042
.long 0xD1000016, 0x00D22CF2
.long 0xD1000017, 0x00D22EF2
.long 0xD3B1401A, 0x18023516
.long 0xD3B24004, 0x18023110
.long 0xD3B24006, 0x18023512
.long 0xBEC81E3E
.long 0x7E300304
.long 0x7E320305
.long 0x7E340306
.long 0x7E360307
.long 0x924AB424
.long 0x80104A10
.long 0x82118011
.long 0xE07C1000, 0x80041809
.long 0xD0CC0034, 0x00010042
.long 0xD1000014, 0x00D228F2
.long 0xD1000015, 0x00D22AF2
.long 0xD3B1401C, 0x18023914
.long 0xD0CC0034, 0x00010042
.long 0xD1000016, 0x00D22CF2
.long 0xD1000017, 0x00D22EF2
.long 0xD3B1401E, 0x18023D16
.long 0xD3B24004, 0x18023910
.long 0xD3B24006, 0x18023D12
.long 0xBEC81E3E
.long 0x7E380304
.long 0x7E3A0305
.long 0x7E3C0306
.long 0x7E3E0307
.long 0x8E4A8224
.long 0x80104A10
.long 0x82118011
.long 0xE07C1000, 0x80041C09
	;; [unrolled: 19-line block ×16, first 2 shown]
.long 0xBF800000
.long 0xBF825D3C
	;; [unrolled: 1-line block ×19, first 2 shown]
.long 0x810584FF, 0x00017388
.long 0x803E053E
.long 0x823F803F
.long 0xBF820030
.long 0xBEBE1C00
.long 0x810584FF, 0x00017374
.long 0x803E053E
.long 0x823F803F
.long 0xBF82002A
.long 0xBEBE1C00
	;; [unrolled: 5-line block ×8, first 2 shown]
.long 0x810584FF, 0x000173A0
.long 0x803E053E
.long 0x823F803F
	;; [unrolled: 1-line block ×3, first 2 shown]
.long 0x7EA202FF, 0x80000000
.long 0xD0C9004A, 0x00003100
	;; [unrolled: 1-line block ×3, first 2 shown]
.long 0x86CE4E4A
.long 0x924A02FF, 0x00000100
.long 0xD135000A, 0x00009500
.long 0x24141482
.long 0xD100000A, 0x013A1551
.long 0xBF8CC07F
.long 0xBF8A0000
.long 0xD86C0000, 0x0C00000A
.long 0x24160082
.long 0xE0501000, 0x80100D0B
.long 0xD1FE0009, 0x020A0103
.long 0xD1000009, 0x013A1351
.long 0xD1196A04, 0x00010300
.long 0xD0C9004A, 0x00003104
.long 0xD0C9004E, 0x00003301
.long 0x86CE4E4A
.long 0x924A02FF, 0x00000100
.long 0xD1350010, 0x00009504
.long 0x24202082
.long 0xD1000010, 0x013A2151
.long 0xD86C0000, 0x12000010
.long 0x24220882
.long 0xE0501000, 0x80101311
.long 0xD1FE000F, 0x020A0903
.long 0xD100000F, 0x013A1F51
.long 0xD1196A04, 0x00010500
.long 0xD0C9004A, 0x00003104
.long 0xD0C9004E, 0x00003301
.long 0x86CE4E4A
.long 0x924A02FF, 0x00000100
.long 0xD1350016, 0x00009504
.long 0x242C2C82
.long 0xD1000016, 0x013A2D51
	;; [unrolled: 13-line block ×3, first 2 shown]
.long 0xD86C0000, 0x1E00001C
.long 0x243A0882
.long 0xE0501000, 0x80101F1D
.long 0xD1FE001B, 0x020A0903
	;; [unrolled: 1-line block ×8, first 2 shown]
.long 0x86CE4E4A
.long 0x924A02FF, 0x00000100
.long 0xD1350022, 0x00009500
.long 0x24444482
.long 0xD1000022, 0x013A4551
.long 0x24460082
.long 0xD1FE0021, 0x020A0103
.long 0xD1000021, 0x013A4351
.long 0xD1196A04, 0x00010300
.long 0xD0C9004A, 0x00003104
.long 0xD0C9004E, 0x00003301
.long 0x86CE4E4A
.long 0x924A02FF, 0x00000100
.long 0xD1350026, 0x00009504
.long 0x244C4C82
.long 0xD1000026, 0x013A4D51
.long 0x244E0882
.long 0xD1FE0025, 0x020A0903
.long 0xD1000025, 0x013A4B51
.long 0xD1196A04, 0x00010500
.long 0xD0C9004A, 0x00003104
.long 0xD0C9004E, 0x00003301
.long 0x86CE4E4A
.long 0x924A02FF, 0x00000100
.long 0xD135002A, 0x00009504
.long 0x24545482
.long 0xD100002A, 0x013A5551
.long 0x24560882
.long 0xD1FE0029, 0x020A0903
.long 0xD1000029, 0x013A5351
.long 0xD1196A04, 0x00010700
.long 0xD0C9004A, 0x00003104
.long 0xD0C9004E, 0x00003301
.long 0x86CE4E4A
.long 0x924A02FF, 0x00000100
.long 0xD135002E, 0x00009504
.long 0x245C5C82
.long 0xD100002E, 0x013A5D51
.long 0x245E0882
.long 0xD1FE002D, 0x020A0903
.long 0xD100002D, 0x013A5B51
.long 0xD1196A01, 0x00010301
.long 0xD1340002, 0x00004D02
.long 0xD1340003, 0x00004903
.long 0xD0C9004A, 0x00003100
.long 0xD0C9004E, 0x00003301
.long 0x86CE4E4A
.long 0x924A02FF, 0x00000100
.long 0xD1350032, 0x00009500
.long 0x24646482
.long 0xD1000032, 0x013A6551
.long 0x24660082
.long 0xD1FE0031, 0x020A0103
.long 0xD1000031, 0x013A6351
.long 0xD1196A04, 0x00010300
.long 0xD0C9004A, 0x00003104
.long 0xD0C9004E, 0x00003301
.long 0x86CE4E4A
.long 0x924A02FF, 0x00000100
.long 0xD1350036, 0x00009504
.long 0x246C6C82
.long 0xD1000036, 0x013A6D51
.long 0x246E0882
.long 0xD1FE0035, 0x020A0903
.long 0xD1000035, 0x013A6B51
.long 0xD1196A04, 0x00010500
.long 0xD0C9004A, 0x00003104
.long 0xD0C9004E, 0x00003301
.long 0x86CE4E4A
.long 0x924A02FF, 0x00000100
.long 0xD135003A, 0x00009504
.long 0x24747482
.long 0xD100003A, 0x013A7551
.long 0x24760882
.long 0xD1FE0039, 0x020A0903
.long 0xD1000039, 0x013A7351
.long 0xD1196A04, 0x00010700
.long 0xD0C9004A, 0x00003104
.long 0xD0C9004E, 0x00003301
.long 0x86CE4E4A
.long 0x924A02FF, 0x00000100
.long 0xD135003E, 0x00009504
.long 0x247C7C82
.long 0xD100003E, 0x013A7D51
.long 0x247E0882
.long 0xD1FE003D, 0x020A0903
.long 0xD100003D, 0x013A7B51
.long 0xD1196A01, 0x00010301
.long 0xD1340002, 0x00004D02
.long 0xD1340003, 0x00004903
.long 0xD0C9004A, 0x00003100
.long 0xD0C9004E, 0x00003301
	;; [unrolled: 46-line block ×3, first 2 shown]
.long 0xD3D84028, 0x18000105
.long 0xD3D8402C, 0x18000109
	;; [unrolled: 1-line block ×11, first 2 shown]
.long 0xBF800001
.long 0x0A1C1C2C
	;; [unrolled: 1-line block ×18, first 2 shown]
.long 0xD0CC0034, 0x00010042
.long 0xD100000D, 0x00D21AF2
.long 0x0A1C1D0D
.long 0x02081D0C
.long 0xBEC81E3E
.long 0x7E1C0304
.long 0xE0701000, 0x80040E09
.long 0xD0CC0034, 0x00010042
.long 0xD1000013, 0x00D226F2
.long 0x0A282913
.long 0x02082912
.long 0xBEC81E3E
.long 0x7E280304
.long 0xE0701000, 0x8004140F
	;; [unrolled: 7-line block ×16, first 2 shown]
.long 0xBF800000
.long 0x7EA202FF, 0x80000000
.long 0xD1196A01, 0x00011B01
.long 0x924A8D26
.long 0xD1340002, 0x00009502
.long 0x924A8D24
.long 0xD1340003, 0x00009503
.long 0xD0C9004A, 0x00003100
.long 0xD0C9004E, 0x00003301
.long 0x86CE4E4A
.long 0x924A02FF, 0x00000100
.long 0xD135000A, 0x00009500
.long 0x24141482
.long 0xD100000A, 0x013A1551
.long 0xD86C0000, 0x0C00000A
.long 0x24160082
.long 0xE0501000, 0x80100D0B
.long 0xD1FE0009, 0x020A0103
.long 0xD1000009, 0x013A1351
.long 0xD1196A04, 0x00010300
.long 0xD0C9004A, 0x00003104
.long 0xD0C9004E, 0x00003301
.long 0x86CE4E4A
.long 0x924A02FF, 0x00000100
.long 0xD1350010, 0x00009504
.long 0x24202082
.long 0xD1000010, 0x013A2151
.long 0xD86C0000, 0x12000010
.long 0x24220882
.long 0xE0501000, 0x80101311
.long 0xD1FE000F, 0x020A0903
.long 0xD100000F, 0x013A1F51
	;; [unrolled: 13-line block ×4, first 2 shown]
.long 0xD1196A01, 0x00010301
.long 0xD1340002, 0x00004D02
.long 0xD1340003, 0x00004903
.long 0xD0C9004A, 0x00003100
.long 0xD0C9004E, 0x00003301
.long 0x86CE4E4A
.long 0x924A02FF, 0x00000100
.long 0xD1350022, 0x00009500
.long 0x24444482
.long 0xD1000022, 0x013A4551
.long 0x24460082
.long 0xD1FE0021, 0x020A0103
.long 0xD1000021, 0x013A4351
.long 0xD1196A04, 0x00010300
.long 0xD0C9004A, 0x00003104
.long 0xD0C9004E, 0x00003301
.long 0x86CE4E4A
.long 0x924A02FF, 0x00000100
.long 0xD1350026, 0x00009504
.long 0x244C4C82
.long 0xD1000026, 0x013A4D51
.long 0x244E0882
.long 0xD1FE0025, 0x020A0903
.long 0xD1000025, 0x013A4B51
.long 0xD1196A04, 0x00010500
.long 0xD0C9004A, 0x00003104
.long 0xD0C9004E, 0x00003301
.long 0x86CE4E4A
.long 0x924A02FF, 0x00000100
.long 0xD135002A, 0x00009504
.long 0x24545482
.long 0xD100002A, 0x013A5551
.long 0x24560882
.long 0xD1FE0029, 0x020A0903
.long 0xD1000029, 0x013A5351
.long 0xD1196A04, 0x00010700
.long 0xD0C9004A, 0x00003104
.long 0xD0C9004E, 0x00003301
.long 0x86CE4E4A
.long 0x924A02FF, 0x00000100
.long 0xD135002E, 0x00009504
.long 0x245C5C82
.long 0xD100002E, 0x013A5D51
.long 0x245E0882
.long 0xD1FE002D, 0x020A0903
.long 0xD100002D, 0x013A5B51
.long 0xD1196A01, 0x00010301
.long 0xD1340002, 0x00004D02
.long 0xD1340003, 0x00004903
.long 0xD0C9004A, 0x00003100
.long 0xD0C9004E, 0x00003301
.long 0x86CE4E4A
.long 0x924A02FF, 0x00000100
.long 0xD1350032, 0x00009500
.long 0x24646482
.long 0xD1000032, 0x013A6551
.long 0x24660082
.long 0xD1FE0031, 0x020A0103
.long 0xD1000031, 0x013A6351
.long 0xD1196A04, 0x00010300
.long 0xD0C9004A, 0x00003104
.long 0xD0C9004E, 0x00003301
.long 0x86CE4E4A
.long 0x924A02FF, 0x00000100
.long 0xD1350036, 0x00009504
.long 0x246C6C82
.long 0xD1000036, 0x013A6D51
.long 0x246E0882
.long 0xD1FE0035, 0x020A0903
.long 0xD1000035, 0x013A6B51
.long 0xD1196A04, 0x00010500
.long 0xD0C9004A, 0x00003104
.long 0xD0C9004E, 0x00003301
.long 0x86CE4E4A
.long 0x924A02FF, 0x00000100
.long 0xD135003A, 0x00009504
.long 0x24747482
.long 0xD100003A, 0x013A7551
.long 0x24760882
.long 0xD1FE0039, 0x020A0903
.long 0xD1000039, 0x013A7351
.long 0xD1196A04, 0x00010700
.long 0xD0C9004A, 0x00003104
.long 0xD0C9004E, 0x00003301
.long 0x86CE4E4A
.long 0x924A02FF, 0x00000100
.long 0xD135003E, 0x00009504
.long 0x247C7C82
.long 0xD100003E, 0x013A7D51
.long 0x247E0882
.long 0xD1FE003D, 0x020A0903
.long 0xD100003D, 0x013A7B51
	;; [unrolled: 46-line block ×3, first 2 shown]
.long 0xD3D8400E, 0x18000110
.long 0xD3D84014, 0x18000114
	;; [unrolled: 1-line block ×16, first 2 shown]
.long 0xBF800001
.long 0x0A1C1C2C
	;; [unrolled: 1-line block ×18, first 2 shown]
.long 0xD0CC0034, 0x00010042
.long 0xD100000D, 0x00D21AF2
.long 0x0A1C1D0D
.long 0x02081D0C
.long 0xBEC81E3E
.long 0x7E1C0304
.long 0xE0701000, 0x80040E09
.long 0xD0CC0034, 0x00010042
.long 0xD1000013, 0x00D226F2
.long 0x0A282913
.long 0x02082912
.long 0xBEC81E3E
.long 0x7E280304
.long 0xE0701000, 0x8004140F
	;; [unrolled: 7-line block ×16, first 2 shown]
.long 0xBF800000
.long 0x7EA202FF, 0x80000000
.long 0xD1196A01, 0x00011B01
.long 0x924A8D26
.long 0xD1340002, 0x00009502
.long 0x924A8D24
.long 0xD1340003, 0x00009503
.long 0xD0C9004A, 0x00003100
.long 0xD0C9004E, 0x00003301
.long 0x86CE4E4A
.long 0x924A02FF, 0x00000100
.long 0xD135000A, 0x00009500
.long 0x24141482
.long 0xD100000A, 0x013A1551
.long 0xD86C0000, 0x0C00000A
.long 0x24160082
.long 0xE0501000, 0x80100D0B
.long 0xD1FE0009, 0x020A0103
.long 0xD1000009, 0x013A1351
.long 0xD1196A04, 0x00010300
.long 0xD0C9004A, 0x00003104
.long 0xD0C9004E, 0x00003301
.long 0x86CE4E4A
.long 0x924A02FF, 0x00000100
.long 0xD1350010, 0x00009504
.long 0x24202082
.long 0xD1000010, 0x013A2151
.long 0xD86C0000, 0x12000010
.long 0x24220882
.long 0xE0501000, 0x80101311
.long 0xD1FE000F, 0x020A0903
.long 0xD100000F, 0x013A1F51
	;; [unrolled: 13-line block ×4, first 2 shown]
.long 0xD1196A01, 0x00010301
.long 0xD1340002, 0x00004D02
.long 0xD1340003, 0x00004903
.long 0xD0C9004A, 0x00003100
.long 0xD0C9004E, 0x00003301
.long 0x86CE4E4A
.long 0x924A02FF, 0x00000100
.long 0xD1350022, 0x00009500
.long 0x24444482
.long 0xD1000022, 0x013A4551
.long 0x24460082
.long 0xD1FE0021, 0x020A0103
.long 0xD1000021, 0x013A4351
.long 0xD1196A04, 0x00010300
.long 0xD0C9004A, 0x00003104
.long 0xD0C9004E, 0x00003301
.long 0x86CE4E4A
.long 0x924A02FF, 0x00000100
.long 0xD1350026, 0x00009504
.long 0x244C4C82
.long 0xD1000026, 0x013A4D51
.long 0x244E0882
.long 0xD1FE0025, 0x020A0903
.long 0xD1000025, 0x013A4B51
.long 0xD1196A04, 0x00010500
.long 0xD0C9004A, 0x00003104
.long 0xD0C9004E, 0x00003301
.long 0x86CE4E4A
.long 0x924A02FF, 0x00000100
.long 0xD135002A, 0x00009504
.long 0x24545482
.long 0xD100002A, 0x013A5551
.long 0x24560882
.long 0xD1FE0029, 0x020A0903
.long 0xD1000029, 0x013A5351
.long 0xD1196A04, 0x00010700
.long 0xD0C9004A, 0x00003104
.long 0xD0C9004E, 0x00003301
.long 0x86CE4E4A
.long 0x924A02FF, 0x00000100
.long 0xD135002E, 0x00009504
.long 0x245C5C82
.long 0xD100002E, 0x013A5D51
.long 0x245E0882
.long 0xD1FE002D, 0x020A0903
.long 0xD100002D, 0x013A5B51
.long 0xD1196A01, 0x00010301
.long 0xD1340002, 0x00004D02
.long 0xD1340003, 0x00004903
.long 0xD0C9004A, 0x00003100
.long 0xD0C9004E, 0x00003301
.long 0x86CE4E4A
.long 0x924A02FF, 0x00000100
.long 0xD1350032, 0x00009500
.long 0x24646482
.long 0xD1000032, 0x013A6551
.long 0x24660082
.long 0xD1FE0031, 0x020A0103
.long 0xD1000031, 0x013A6351
.long 0xD1196A04, 0x00010300
.long 0xD0C9004A, 0x00003104
.long 0xD0C9004E, 0x00003301
.long 0x86CE4E4A
.long 0x924A02FF, 0x00000100
.long 0xD1350036, 0x00009504
.long 0x246C6C82
.long 0xD1000036, 0x013A6D51
.long 0x246E0882
.long 0xD1FE0035, 0x020A0903
.long 0xD1000035, 0x013A6B51
.long 0xD1196A04, 0x00010500
.long 0xD0C9004A, 0x00003104
.long 0xD0C9004E, 0x00003301
.long 0x86CE4E4A
.long 0x924A02FF, 0x00000100
.long 0xD135003A, 0x00009504
.long 0x24747482
.long 0xD100003A, 0x013A7551
.long 0x24760882
.long 0xD1FE0039, 0x020A0903
.long 0xD1000039, 0x013A7351
.long 0xD1196A04, 0x00010700
.long 0xD0C9004A, 0x00003104
.long 0xD0C9004E, 0x00003301
.long 0x86CE4E4A
.long 0x924A02FF, 0x00000100
.long 0xD135003E, 0x00009504
.long 0x247C7C82
.long 0xD100003E, 0x013A7D51
.long 0x247E0882
.long 0xD1FE003D, 0x020A0903
.long 0xD100003D, 0x013A7B51
	;; [unrolled: 46-line block ×3, first 2 shown]
.long 0xD3D8400E, 0x18000120
.long 0xD3D84014, 0x18000124
	;; [unrolled: 1-line block ×16, first 2 shown]
.long 0xBF800001
.long 0x0A1C1C2C
	;; [unrolled: 1-line block ×18, first 2 shown]
.long 0xD0CC0034, 0x00010042
.long 0xD100000D, 0x00D21AF2
.long 0x0A1C1D0D
.long 0x02081D0C
.long 0xBEC81E3E
.long 0x7E1C0304
.long 0xE0701000, 0x80040E09
.long 0xD0CC0034, 0x00010042
.long 0xD1000013, 0x00D226F2
.long 0x0A282913
.long 0x02082912
.long 0xBEC81E3E
.long 0x7E280304
.long 0xE0701000, 0x8004140F
	;; [unrolled: 7-line block ×16, first 2 shown]
.long 0xBF800000
.long 0x7EA202FF, 0x80000000
.long 0xD1196A01, 0x00011B01
.long 0x924A8D26
.long 0xD1340002, 0x00009502
.long 0x924A8D24
.long 0xD1340003, 0x00009503
.long 0xD0C9004A, 0x00003100
.long 0xD0C9004E, 0x00003301
.long 0x86CE4E4A
.long 0x924A02FF, 0x00000100
.long 0xD135000A, 0x00009500
.long 0x24141482
.long 0xD100000A, 0x013A1551
.long 0xD86C0000, 0x0C00000A
.long 0x24160082
.long 0xE0501000, 0x80100D0B
.long 0xD1FE0009, 0x020A0103
.long 0xD1000009, 0x013A1351
.long 0xD1196A04, 0x00010300
.long 0xD0C9004A, 0x00003104
.long 0xD0C9004E, 0x00003301
.long 0x86CE4E4A
.long 0x924A02FF, 0x00000100
.long 0xD1350010, 0x00009504
.long 0x24202082
.long 0xD1000010, 0x013A2151
.long 0xD86C0000, 0x12000010
.long 0x24220882
.long 0xE0501000, 0x80101311
.long 0xD1FE000F, 0x020A0903
.long 0xD100000F, 0x013A1F51
	;; [unrolled: 13-line block ×4, first 2 shown]
.long 0xD1196A01, 0x00010301
.long 0xD1340002, 0x00004D02
.long 0xD1340003, 0x00004903
.long 0xD0C9004A, 0x00003100
.long 0xD0C9004E, 0x00003301
.long 0x86CE4E4A
.long 0x924A02FF, 0x00000100
.long 0xD1350022, 0x00009500
.long 0x24444482
.long 0xD1000022, 0x013A4551
.long 0x24460082
.long 0xD1FE0021, 0x020A0103
.long 0xD1000021, 0x013A4351
.long 0xD1196A04, 0x00010300
.long 0xD0C9004A, 0x00003104
.long 0xD0C9004E, 0x00003301
.long 0x86CE4E4A
.long 0x924A02FF, 0x00000100
.long 0xD1350026, 0x00009504
.long 0x244C4C82
.long 0xD1000026, 0x013A4D51
.long 0x244E0882
.long 0xD1FE0025, 0x020A0903
.long 0xD1000025, 0x013A4B51
.long 0xD1196A04, 0x00010500
.long 0xD0C9004A, 0x00003104
.long 0xD0C9004E, 0x00003301
.long 0x86CE4E4A
.long 0x924A02FF, 0x00000100
.long 0xD135002A, 0x00009504
.long 0x24545482
.long 0xD100002A, 0x013A5551
.long 0x24560882
.long 0xD1FE0029, 0x020A0903
.long 0xD1000029, 0x013A5351
.long 0xD1196A04, 0x00010700
.long 0xD0C9004A, 0x00003104
.long 0xD0C9004E, 0x00003301
.long 0x86CE4E4A
.long 0x924A02FF, 0x00000100
.long 0xD135002E, 0x00009504
.long 0x245C5C82
.long 0xD100002E, 0x013A5D51
.long 0x245E0882
.long 0xD1FE002D, 0x020A0903
.long 0xD100002D, 0x013A5B51
.long 0xD1196A01, 0x00010301
.long 0xD1340002, 0x00004D02
.long 0xD1340003, 0x00004903
.long 0xD0C9004A, 0x00003100
.long 0xD0C9004E, 0x00003301
.long 0x86CE4E4A
.long 0x924A02FF, 0x00000100
.long 0xD1350032, 0x00009500
.long 0x24646482
.long 0xD1000032, 0x013A6551
.long 0x24660082
.long 0xD1FE0031, 0x020A0103
.long 0xD1000031, 0x013A6351
.long 0xD1196A04, 0x00010300
.long 0xD0C9004A, 0x00003104
.long 0xD0C9004E, 0x00003301
.long 0x86CE4E4A
.long 0x924A02FF, 0x00000100
.long 0xD1350036, 0x00009504
.long 0x246C6C82
.long 0xD1000036, 0x013A6D51
.long 0x246E0882
.long 0xD1FE0035, 0x020A0903
.long 0xD1000035, 0x013A6B51
.long 0xD1196A04, 0x00010500
.long 0xD0C9004A, 0x00003104
.long 0xD0C9004E, 0x00003301
.long 0x86CE4E4A
.long 0x924A02FF, 0x00000100
.long 0xD135003A, 0x00009504
.long 0x24747482
.long 0xD100003A, 0x013A7551
.long 0x24760882
.long 0xD1FE0039, 0x020A0903
.long 0xD1000039, 0x013A7351
.long 0xD1196A04, 0x00010700
.long 0xD0C9004A, 0x00003104
.long 0xD0C9004E, 0x00003301
.long 0x86CE4E4A
.long 0x924A02FF, 0x00000100
.long 0xD135003E, 0x00009504
.long 0x247C7C82
.long 0xD100003E, 0x013A7D51
.long 0x247E0882
.long 0xD1FE003D, 0x020A0903
.long 0xD100003D, 0x013A7B51
	;; [unrolled: 46-line block ×3, first 2 shown]
.long 0xD3D8400E, 0x18000130
.long 0xD3D84014, 0x18000134
.long 0xD3D8401A, 0x18000138
.long 0xD3D84020, 0x1800013C
.long 0xD3D84024, 0x18000131
.long 0xD3D84028, 0x18000135
.long 0xD3D8402C, 0x18000139
.long 0xD3D84030, 0x1800013D
.long 0xD3D84034, 0x18000132
.long 0xD3D84038, 0x18000136
.long 0xD3D8403C, 0x1800013A
.long 0xD3D84040, 0x1800013E
.long 0xD3D84044, 0x18000133
.long 0xD3D84048, 0x18000137
.long 0xD3D8404C, 0x1800013B
.long 0xD3D84050, 0x1800013F
.long 0xBF800001
.long 0x0A1C1C2C
	;; [unrolled: 1-line block ×18, first 2 shown]
.long 0xD0CC0034, 0x00010042
.long 0xD100000D, 0x00D21AF2
.long 0x0A1C1D0D
.long 0x02081D0C
.long 0xBEC81E3E
.long 0x7E1C0304
.long 0xE0701000, 0x80040E09
.long 0xD0CC0034, 0x00010042
.long 0xD1000013, 0x00D226F2
.long 0x0A282913
.long 0x02082912
.long 0xBEC81E3E
.long 0x7E280304
.long 0xE0701000, 0x8004140F
	;; [unrolled: 7-line block ×16, first 2 shown]
.long 0xBF800000
.long 0x7EA202FF, 0x80000000
.long 0xD1196A01, 0x00011B01
.long 0x924A8D26
.long 0xD1340002, 0x00009502
.long 0x924A8D24
.long 0xD1340003, 0x00009503
.long 0xD0C9004A, 0x00003100
.long 0xD0C9004E, 0x00003301
.long 0x86CE4E4A
.long 0x924A02FF, 0x00000100
.long 0xD135000A, 0x00009500
.long 0x24141482
.long 0xD100000A, 0x013A1551
.long 0xD86C0000, 0x0C00000A
.long 0x24160082
.long 0xE0501000, 0x80100D0B
.long 0xD1FE0009, 0x020A0103
.long 0xD1000009, 0x013A1351
.long 0xD1196A04, 0x00010300
.long 0xD0C9004A, 0x00003104
.long 0xD0C9004E, 0x00003301
.long 0x86CE4E4A
.long 0x924A02FF, 0x00000100
.long 0xD1350010, 0x00009504
.long 0x24202082
.long 0xD1000010, 0x013A2151
.long 0xD86C0000, 0x12000010
.long 0x24220882
.long 0xE0501000, 0x80101311
.long 0xD1FE000F, 0x020A0903
.long 0xD100000F, 0x013A1F51
	;; [unrolled: 13-line block ×4, first 2 shown]
.long 0xD1196A01, 0x00010301
.long 0xD1340002, 0x00004D02
.long 0xD1340003, 0x00004903
.long 0xD0C9004A, 0x00003100
.long 0xD0C9004E, 0x00003301
.long 0x86CE4E4A
.long 0x924A02FF, 0x00000100
.long 0xD1350022, 0x00009500
.long 0x24444482
.long 0xD1000022, 0x013A4551
.long 0x24460082
.long 0xD1FE0021, 0x020A0103
.long 0xD1000021, 0x013A4351
.long 0xD1196A04, 0x00010300
.long 0xD0C9004A, 0x00003104
.long 0xD0C9004E, 0x00003301
.long 0x86CE4E4A
.long 0x924A02FF, 0x00000100
.long 0xD1350026, 0x00009504
.long 0x244C4C82
.long 0xD1000026, 0x013A4D51
.long 0x244E0882
.long 0xD1FE0025, 0x020A0903
.long 0xD1000025, 0x013A4B51
.long 0xD1196A04, 0x00010500
.long 0xD0C9004A, 0x00003104
.long 0xD0C9004E, 0x00003301
.long 0x86CE4E4A
.long 0x924A02FF, 0x00000100
.long 0xD135002A, 0x00009504
.long 0x24545482
.long 0xD100002A, 0x013A5551
.long 0x24560882
.long 0xD1FE0029, 0x020A0903
.long 0xD1000029, 0x013A5351
.long 0xD1196A04, 0x00010700
.long 0xD0C9004A, 0x00003104
.long 0xD0C9004E, 0x00003301
.long 0x86CE4E4A
.long 0x924A02FF, 0x00000100
.long 0xD135002E, 0x00009504
.long 0x245C5C82
.long 0xD100002E, 0x013A5D51
.long 0x245E0882
.long 0xD1FE002D, 0x020A0903
.long 0xD100002D, 0x013A5B51
.long 0xD1196A01, 0x00010301
.long 0xD1340002, 0x00004D02
.long 0xD1340003, 0x00004903
.long 0xD0C9004A, 0x00003100
.long 0xD0C9004E, 0x00003301
.long 0x86CE4E4A
.long 0x924A02FF, 0x00000100
.long 0xD1350032, 0x00009500
.long 0x24646482
.long 0xD1000032, 0x013A6551
.long 0x24660082
.long 0xD1FE0031, 0x020A0103
.long 0xD1000031, 0x013A6351
.long 0xD1196A04, 0x00010300
.long 0xD0C9004A, 0x00003104
.long 0xD0C9004E, 0x00003301
.long 0x86CE4E4A
.long 0x924A02FF, 0x00000100
.long 0xD1350036, 0x00009504
.long 0x246C6C82
.long 0xD1000036, 0x013A6D51
.long 0x246E0882
.long 0xD1FE0035, 0x020A0903
.long 0xD1000035, 0x013A6B51
.long 0xD1196A04, 0x00010500
.long 0xD0C9004A, 0x00003104
.long 0xD0C9004E, 0x00003301
.long 0x86CE4E4A
.long 0x924A02FF, 0x00000100
.long 0xD135003A, 0x00009504
.long 0x24747482
.long 0xD100003A, 0x013A7551
.long 0x24760882
.long 0xD1FE0039, 0x020A0903
.long 0xD1000039, 0x013A7351
.long 0xD1196A04, 0x00010700
.long 0xD0C9004A, 0x00003104
.long 0xD0C9004E, 0x00003301
.long 0x86CE4E4A
.long 0x924A02FF, 0x00000100
.long 0xD135003E, 0x00009504
.long 0x247C7C82
.long 0xD100003E, 0x013A7D51
.long 0x247E0882
.long 0xD1FE003D, 0x020A0903
.long 0xD100003D, 0x013A7B51
	;; [unrolled: 46-line block ×3, first 2 shown]
.long 0xD3D8400E, 0x18000140
.long 0xD3D84014, 0x18000144
	;; [unrolled: 1-line block ×16, first 2 shown]
.long 0xBF800001
.long 0x0A1C1C2C
	;; [unrolled: 1-line block ×18, first 2 shown]
.long 0xD0CC0034, 0x00010042
.long 0xD100000D, 0x00D21AF2
.long 0x0A1C1D0D
.long 0x02081D0C
.long 0xBEC81E3E
.long 0x7E1C0304
.long 0xE0701000, 0x80040E09
.long 0xD0CC0034, 0x00010042
.long 0xD1000013, 0x00D226F2
.long 0x0A282913
.long 0x02082912
.long 0xBEC81E3E
.long 0x7E280304
.long 0xE0701000, 0x8004140F
	;; [unrolled: 7-line block ×16, first 2 shown]
.long 0xBF800000
.long 0x7EA202FF, 0x80000000
.long 0xD1196A01, 0x00011B01
.long 0x924A8D26
.long 0xD1340002, 0x00009502
.long 0x924A8D24
.long 0xD1340003, 0x00009503
.long 0xD0C9004A, 0x00003100
.long 0xD0C9004E, 0x00003301
.long 0x86CE4E4A
.long 0x924A02FF, 0x00000100
.long 0xD135000A, 0x00009500
.long 0x24141482
.long 0xD100000A, 0x013A1551
.long 0xD86C0000, 0x0C00000A
.long 0x24160082
.long 0xE0501000, 0x80100D0B
.long 0xD1FE0009, 0x020A0103
.long 0xD1000009, 0x013A1351
.long 0xD1196A04, 0x00010300
.long 0xD0C9004A, 0x00003104
.long 0xD0C9004E, 0x00003301
.long 0x86CE4E4A
.long 0x924A02FF, 0x00000100
.long 0xD1350010, 0x00009504
.long 0x24202082
.long 0xD1000010, 0x013A2151
.long 0xD86C0000, 0x12000010
.long 0x24220882
.long 0xE0501000, 0x80101311
.long 0xD1FE000F, 0x020A0903
.long 0xD100000F, 0x013A1F51
	;; [unrolled: 13-line block ×4, first 2 shown]
.long 0xD1196A01, 0x00010301
.long 0xD1340002, 0x00004D02
.long 0xD1340003, 0x00004903
.long 0xD0C9004A, 0x00003100
.long 0xD0C9004E, 0x00003301
.long 0x86CE4E4A
.long 0x924A02FF, 0x00000100
.long 0xD1350022, 0x00009500
.long 0x24444482
.long 0xD1000022, 0x013A4551
.long 0x24460082
.long 0xD1FE0021, 0x020A0103
.long 0xD1000021, 0x013A4351
.long 0xD1196A04, 0x00010300
.long 0xD0C9004A, 0x00003104
.long 0xD0C9004E, 0x00003301
.long 0x86CE4E4A
.long 0x924A02FF, 0x00000100
.long 0xD1350026, 0x00009504
.long 0x244C4C82
.long 0xD1000026, 0x013A4D51
.long 0x244E0882
.long 0xD1FE0025, 0x020A0903
.long 0xD1000025, 0x013A4B51
.long 0xD1196A04, 0x00010500
.long 0xD0C9004A, 0x00003104
.long 0xD0C9004E, 0x00003301
.long 0x86CE4E4A
.long 0x924A02FF, 0x00000100
.long 0xD135002A, 0x00009504
.long 0x24545482
.long 0xD100002A, 0x013A5551
.long 0x24560882
.long 0xD1FE0029, 0x020A0903
.long 0xD1000029, 0x013A5351
.long 0xD1196A04, 0x00010700
.long 0xD0C9004A, 0x00003104
.long 0xD0C9004E, 0x00003301
.long 0x86CE4E4A
.long 0x924A02FF, 0x00000100
.long 0xD135002E, 0x00009504
.long 0x245C5C82
.long 0xD100002E, 0x013A5D51
.long 0x245E0882
.long 0xD1FE002D, 0x020A0903
.long 0xD100002D, 0x013A5B51
.long 0xD1196A01, 0x00010301
.long 0xD1340002, 0x00004D02
.long 0xD1340003, 0x00004903
.long 0xD0C9004A, 0x00003100
.long 0xD0C9004E, 0x00003301
.long 0x86CE4E4A
.long 0x924A02FF, 0x00000100
.long 0xD1350032, 0x00009500
.long 0x24646482
.long 0xD1000032, 0x013A6551
.long 0x24660082
.long 0xD1FE0031, 0x020A0103
.long 0xD1000031, 0x013A6351
.long 0xD1196A04, 0x00010300
.long 0xD0C9004A, 0x00003104
.long 0xD0C9004E, 0x00003301
.long 0x86CE4E4A
.long 0x924A02FF, 0x00000100
.long 0xD1350036, 0x00009504
.long 0x246C6C82
.long 0xD1000036, 0x013A6D51
.long 0x246E0882
.long 0xD1FE0035, 0x020A0903
.long 0xD1000035, 0x013A6B51
.long 0xD1196A04, 0x00010500
.long 0xD0C9004A, 0x00003104
.long 0xD0C9004E, 0x00003301
.long 0x86CE4E4A
.long 0x924A02FF, 0x00000100
.long 0xD135003A, 0x00009504
.long 0x24747482
.long 0xD100003A, 0x013A7551
.long 0x24760882
.long 0xD1FE0039, 0x020A0903
.long 0xD1000039, 0x013A7351
.long 0xD1196A04, 0x00010700
.long 0xD0C9004A, 0x00003104
.long 0xD0C9004E, 0x00003301
.long 0x86CE4E4A
.long 0x924A02FF, 0x00000100
.long 0xD135003E, 0x00009504
.long 0x247C7C82
.long 0xD100003E, 0x013A7D51
.long 0x247E0882
.long 0xD1FE003D, 0x020A0903
.long 0xD100003D, 0x013A7B51
	;; [unrolled: 46-line block ×3, first 2 shown]
.long 0xD3D8400E, 0x18000150
.long 0xD3D84014, 0x18000154
	;; [unrolled: 1-line block ×16, first 2 shown]
.long 0xBF800001
.long 0x0A1C1C2C
	;; [unrolled: 1-line block ×18, first 2 shown]
.long 0xD0CC0034, 0x00010042
.long 0xD100000D, 0x00D21AF2
.long 0x0A1C1D0D
.long 0x02081D0C
.long 0xBEC81E3E
.long 0x7E1C0304
.long 0xE0701000, 0x80040E09
.long 0xD0CC0034, 0x00010042
.long 0xD1000013, 0x00D226F2
.long 0x0A282913
.long 0x02082912
.long 0xBEC81E3E
.long 0x7E280304
.long 0xE0701000, 0x8004140F
	;; [unrolled: 7-line block ×16, first 2 shown]
.long 0xBF800000
.long 0x7EA202FF, 0x80000000
.long 0xD1196A01, 0x00011B01
.long 0x924A8D26
.long 0xD1340002, 0x00009502
.long 0x924A8D24
.long 0xD1340003, 0x00009503
.long 0xD0C9004A, 0x00003100
.long 0xD0C9004E, 0x00003301
.long 0x86CE4E4A
.long 0x924A02FF, 0x00000100
.long 0xD135000A, 0x00009500
.long 0x24141482
.long 0xD100000A, 0x013A1551
.long 0xD86C0000, 0x0C00000A
.long 0x24160082
.long 0xE0501000, 0x80100D0B
.long 0xD1FE0009, 0x020A0103
.long 0xD1000009, 0x013A1351
.long 0xD1196A04, 0x00010300
.long 0xD0C9004A, 0x00003104
.long 0xD0C9004E, 0x00003301
.long 0x86CE4E4A
.long 0x924A02FF, 0x00000100
.long 0xD1350010, 0x00009504
.long 0x24202082
.long 0xD1000010, 0x013A2151
.long 0xD86C0000, 0x12000010
.long 0x24220882
.long 0xE0501000, 0x80101311
.long 0xD1FE000F, 0x020A0903
.long 0xD100000F, 0x013A1F51
	;; [unrolled: 13-line block ×4, first 2 shown]
.long 0xD1196A01, 0x00010301
.long 0xD1340002, 0x00004D02
.long 0xD1340003, 0x00004903
.long 0xD0C9004A, 0x00003100
.long 0xD0C9004E, 0x00003301
.long 0x86CE4E4A
.long 0x924A02FF, 0x00000100
.long 0xD1350022, 0x00009500
.long 0x24444482
.long 0xD1000022, 0x013A4551
.long 0x24460082
.long 0xD1FE0021, 0x020A0103
.long 0xD1000021, 0x013A4351
.long 0xD1196A04, 0x00010300
.long 0xD0C9004A, 0x00003104
.long 0xD0C9004E, 0x00003301
.long 0x86CE4E4A
.long 0x924A02FF, 0x00000100
.long 0xD1350026, 0x00009504
.long 0x244C4C82
.long 0xD1000026, 0x013A4D51
.long 0x244E0882
.long 0xD1FE0025, 0x020A0903
.long 0xD1000025, 0x013A4B51
.long 0xD1196A04, 0x00010500
.long 0xD0C9004A, 0x00003104
.long 0xD0C9004E, 0x00003301
.long 0x86CE4E4A
.long 0x924A02FF, 0x00000100
.long 0xD135002A, 0x00009504
.long 0x24545482
.long 0xD100002A, 0x013A5551
.long 0x24560882
.long 0xD1FE0029, 0x020A0903
.long 0xD1000029, 0x013A5351
.long 0xD1196A04, 0x00010700
.long 0xD0C9004A, 0x00003104
.long 0xD0C9004E, 0x00003301
.long 0x86CE4E4A
.long 0x924A02FF, 0x00000100
.long 0xD135002E, 0x00009504
.long 0x245C5C82
.long 0xD100002E, 0x013A5D51
.long 0x245E0882
.long 0xD1FE002D, 0x020A0903
.long 0xD100002D, 0x013A5B51
.long 0xD1196A01, 0x00010301
.long 0xD1340002, 0x00004D02
.long 0xD1340003, 0x00004903
.long 0xD0C9004A, 0x00003100
.long 0xD0C9004E, 0x00003301
.long 0x86CE4E4A
.long 0x924A02FF, 0x00000100
.long 0xD1350032, 0x00009500
.long 0x24646482
.long 0xD1000032, 0x013A6551
.long 0x24660082
.long 0xD1FE0031, 0x020A0103
.long 0xD1000031, 0x013A6351
.long 0xD1196A04, 0x00010300
.long 0xD0C9004A, 0x00003104
.long 0xD0C9004E, 0x00003301
.long 0x86CE4E4A
.long 0x924A02FF, 0x00000100
.long 0xD1350036, 0x00009504
.long 0x246C6C82
.long 0xD1000036, 0x013A6D51
.long 0x246E0882
.long 0xD1FE0035, 0x020A0903
.long 0xD1000035, 0x013A6B51
.long 0xD1196A04, 0x00010500
.long 0xD0C9004A, 0x00003104
.long 0xD0C9004E, 0x00003301
.long 0x86CE4E4A
.long 0x924A02FF, 0x00000100
.long 0xD135003A, 0x00009504
.long 0x24747482
.long 0xD100003A, 0x013A7551
.long 0x24760882
.long 0xD1FE0039, 0x020A0903
.long 0xD1000039, 0x013A7351
.long 0xD1196A04, 0x00010700
.long 0xD0C9004A, 0x00003104
.long 0xD0C9004E, 0x00003301
.long 0x86CE4E4A
.long 0x924A02FF, 0x00000100
.long 0xD135003E, 0x00009504
.long 0x247C7C82
.long 0xD100003E, 0x013A7D51
.long 0x247E0882
.long 0xD1FE003D, 0x020A0903
.long 0xD100003D, 0x013A7B51
	;; [unrolled: 46-line block ×3, first 2 shown]
.long 0xD3D8400E, 0x18000160
.long 0xD3D84014, 0x18000164
	;; [unrolled: 1-line block ×16, first 2 shown]
.long 0xBF800001
.long 0x0A1C1C2C
.long 0x0A28282C
.long 0x0A34342C
.long 0x0A40402C
.long 0x0A48482C
.long 0x0A50502C
.long 0x0A58582C
.long 0x0A60602C
.long 0x0A68682C
.long 0x0A70702C
.long 0x0A78782C
.long 0x0A80802C
.long 0x0A88882C
.long 0x0A90902C
.long 0x0A98982C
.long 0x0AA0A02C
.long 0xBF8C0000
.long 0xD0CC0034, 0x00010042
.long 0xD100000D, 0x00D21AF2
.long 0x0A1C1D0D
.long 0x02081D0C
.long 0xBEC81E3E
.long 0x7E1C0304
.long 0xE0701000, 0x80040E09
.long 0xD0CC0034, 0x00010042
.long 0xD1000013, 0x00D226F2
.long 0x0A282913
.long 0x02082912
.long 0xBEC81E3E
.long 0x7E280304
.long 0xE0701000, 0x8004140F
	;; [unrolled: 7-line block ×16, first 2 shown]
.long 0xBF800000
.long 0x7EA202FF, 0x80000000
.long 0xD1196A01, 0x00011B01
.long 0x924A8D26
.long 0xD1340002, 0x00009502
.long 0x924A8D24
.long 0xD1340003, 0x00009503
.long 0xD0C9004A, 0x00003100
.long 0xD0C9004E, 0x00003301
.long 0x86CE4E4A
.long 0x924A02FF, 0x00000100
.long 0xD135000A, 0x00009500
.long 0x24141482
.long 0xD100000A, 0x013A1551
.long 0xD86C0000, 0x0C00000A
.long 0x24160082
.long 0xE0501000, 0x80100D0B
.long 0xD1FE0009, 0x020A0103
.long 0xD1000009, 0x013A1351
.long 0xD1196A04, 0x00010300
.long 0xD0C9004A, 0x00003104
.long 0xD0C9004E, 0x00003301
.long 0x86CE4E4A
.long 0x924A02FF, 0x00000100
.long 0xD1350010, 0x00009504
.long 0x24202082
.long 0xD1000010, 0x013A2151
.long 0xD86C0000, 0x12000010
.long 0x24220882
.long 0xE0501000, 0x80101311
.long 0xD1FE000F, 0x020A0903
.long 0xD100000F, 0x013A1F51
.long 0xD1196A04, 0x00010500
.long 0xD0C9004A, 0x00003104
.long 0xD0C9004E, 0x00003301
.long 0x86CE4E4A
.long 0x924A02FF, 0x00000100
.long 0xD1350016, 0x00009504
.long 0x242C2C82
.long 0xD1000016, 0x013A2D51
.long 0xD86C0000, 0x18000016
.long 0x242E0882
.long 0xE0501000, 0x80101917
.long 0xD1FE0015, 0x020A0903
.long 0xD1000015, 0x013A2B51
.long 0xD1196A04, 0x00010700
.long 0xD0C9004A, 0x00003104
.long 0xD0C9004E, 0x00003301
.long 0x86CE4E4A
.long 0x924A02FF, 0x00000100
.long 0xD135001C, 0x00009504
.long 0x24383882
.long 0xD100001C, 0x013A3951
.long 0xD86C0000, 0x1E00001C
.long 0x243A0882
.long 0xE0501000, 0x80101F1D
.long 0xD1FE001B, 0x020A0903
.long 0xD100001B, 0x013A3751
.long 0xD1196A01, 0x00010301
.long 0xD1340002, 0x00004D02
.long 0xD1340003, 0x00004903
.long 0xD0C9004A, 0x00003100
.long 0xD0C9004E, 0x00003301
.long 0x86CE4E4A
.long 0x924A02FF, 0x00000100
.long 0xD1350022, 0x00009500
.long 0x24444482
.long 0xD1000022, 0x013A4551
.long 0x24460082
.long 0xD1FE0021, 0x020A0103
.long 0xD1000021, 0x013A4351
.long 0xD1196A04, 0x00010300
.long 0xD0C9004A, 0x00003104
.long 0xD0C9004E, 0x00003301
.long 0x86CE4E4A
.long 0x924A02FF, 0x00000100
.long 0xD1350026, 0x00009504
.long 0x244C4C82
.long 0xD1000026, 0x013A4D51
.long 0x244E0882
.long 0xD1FE0025, 0x020A0903
.long 0xD1000025, 0x013A4B51
.long 0xD1196A04, 0x00010500
.long 0xD0C9004A, 0x00003104
.long 0xD0C9004E, 0x00003301
.long 0x86CE4E4A
.long 0x924A02FF, 0x00000100
.long 0xD135002A, 0x00009504
.long 0x24545482
.long 0xD100002A, 0x013A5551
.long 0x24560882
.long 0xD1FE0029, 0x020A0903
.long 0xD1000029, 0x013A5351
.long 0xD1196A04, 0x00010700
.long 0xD0C9004A, 0x00003104
.long 0xD0C9004E, 0x00003301
.long 0x86CE4E4A
.long 0x924A02FF, 0x00000100
.long 0xD135002E, 0x00009504
.long 0x245C5C82
.long 0xD100002E, 0x013A5D51
.long 0x245E0882
.long 0xD1FE002D, 0x020A0903
.long 0xD100002D, 0x013A5B51
.long 0xD1196A01, 0x00010301
.long 0xD1340002, 0x00004D02
.long 0xD1340003, 0x00004903
.long 0xD0C9004A, 0x00003100
.long 0xD0C9004E, 0x00003301
.long 0x86CE4E4A
.long 0x924A02FF, 0x00000100
.long 0xD1350032, 0x00009500
.long 0x24646482
.long 0xD1000032, 0x013A6551
.long 0x24660082
.long 0xD1FE0031, 0x020A0103
.long 0xD1000031, 0x013A6351
.long 0xD1196A04, 0x00010300
.long 0xD0C9004A, 0x00003104
.long 0xD0C9004E, 0x00003301
.long 0x86CE4E4A
.long 0x924A02FF, 0x00000100
.long 0xD1350036, 0x00009504
.long 0x246C6C82
.long 0xD1000036, 0x013A6D51
.long 0x246E0882
.long 0xD1FE0035, 0x020A0903
.long 0xD1000035, 0x013A6B51
.long 0xD1196A04, 0x00010500
.long 0xD0C9004A, 0x00003104
.long 0xD0C9004E, 0x00003301
.long 0x86CE4E4A
.long 0x924A02FF, 0x00000100
.long 0xD135003A, 0x00009504
.long 0x24747482
.long 0xD100003A, 0x013A7551
.long 0x24760882
.long 0xD1FE0039, 0x020A0903
.long 0xD1000039, 0x013A7351
.long 0xD1196A04, 0x00010700
.long 0xD0C9004A, 0x00003104
.long 0xD0C9004E, 0x00003301
.long 0x86CE4E4A
.long 0x924A02FF, 0x00000100
.long 0xD135003E, 0x00009504
.long 0x247C7C82
.long 0xD100003E, 0x013A7D51
.long 0x247E0882
.long 0xD1FE003D, 0x020A0903
.long 0xD100003D, 0x013A7B51
	;; [unrolled: 46-line block ×3, first 2 shown]
.long 0xD3D8400E, 0x18000170
.long 0xD3D84014, 0x18000174
	;; [unrolled: 1-line block ×16, first 2 shown]
.long 0xBF800001
.long 0x0A1C1C2C
.long 0x0A28282C
.long 0x0A34342C
.long 0x0A40402C
.long 0x0A48482C
.long 0x0A50502C
.long 0x0A58582C
.long 0x0A60602C
.long 0x0A68682C
.long 0x0A70702C
.long 0x0A78782C
.long 0x0A80802C
.long 0x0A88882C
.long 0x0A90902C
.long 0x0A98982C
.long 0x0AA0A02C
.long 0xBF8C0000
.long 0xD0CC0034, 0x00010042
.long 0xD100000D, 0x00D21AF2
.long 0x0A1C1D0D
.long 0x02081D0C
.long 0xBEC81E3E
.long 0x7E1C0304
.long 0xE0701000, 0x80040E09
.long 0xD0CC0034, 0x00010042
.long 0xD1000013, 0x00D226F2
.long 0x0A282913
.long 0x02082912
.long 0xBEC81E3E
.long 0x7E280304
.long 0xE0701000, 0x8004140F
	;; [unrolled: 7-line block ×16, first 2 shown]
.long 0xBF800000
.long 0x7EA202FF, 0x80000000
.long 0xD1196A01, 0x00011B01
.long 0x924A8D26
.long 0xD1340002, 0x00009502
.long 0x924A8D24
.long 0xD1340003, 0x00009503
.long 0xD0C9004A, 0x00003100
.long 0xD0C9004E, 0x00003301
.long 0x86CE4E4A
.long 0x924A02FF, 0x00000100
.long 0xD135000A, 0x00009500
.long 0x24141482
.long 0xD100000A, 0x013A1551
.long 0xD86C0000, 0x0C00000A
.long 0x24160082
.long 0xE0501000, 0x80100D0B
.long 0xD1FE0009, 0x020A0103
.long 0xD1000009, 0x013A1351
.long 0xD1196A04, 0x00010300
.long 0xD0C9004A, 0x00003104
.long 0xD0C9004E, 0x00003301
.long 0x86CE4E4A
.long 0x924A02FF, 0x00000100
.long 0xD1350010, 0x00009504
.long 0x24202082
.long 0xD1000010, 0x013A2151
.long 0xD86C0000, 0x12000010
.long 0x24220882
.long 0xE0501000, 0x80101311
.long 0xD1FE000F, 0x020A0903
.long 0xD100000F, 0x013A1F51
	;; [unrolled: 13-line block ×4, first 2 shown]
.long 0xD1196A01, 0x00010301
.long 0xD1340002, 0x00004D02
.long 0xD1340003, 0x00004903
.long 0xD0C9004A, 0x00003100
.long 0xD0C9004E, 0x00003301
.long 0x86CE4E4A
.long 0x924A02FF, 0x00000100
.long 0xD1350022, 0x00009500
.long 0x24444482
.long 0xD1000022, 0x013A4551
.long 0x24460082
.long 0xD1FE0021, 0x020A0103
.long 0xD1000021, 0x013A4351
.long 0xD1196A04, 0x00010300
.long 0xD0C9004A, 0x00003104
.long 0xD0C9004E, 0x00003301
.long 0x86CE4E4A
.long 0x924A02FF, 0x00000100
.long 0xD1350026, 0x00009504
.long 0x244C4C82
.long 0xD1000026, 0x013A4D51
.long 0x244E0882
.long 0xD1FE0025, 0x020A0903
.long 0xD1000025, 0x013A4B51
.long 0xD1196A04, 0x00010500
.long 0xD0C9004A, 0x00003104
.long 0xD0C9004E, 0x00003301
.long 0x86CE4E4A
.long 0x924A02FF, 0x00000100
.long 0xD135002A, 0x00009504
.long 0x24545482
.long 0xD100002A, 0x013A5551
.long 0x24560882
.long 0xD1FE0029, 0x020A0903
.long 0xD1000029, 0x013A5351
.long 0xD1196A04, 0x00010700
.long 0xD0C9004A, 0x00003104
.long 0xD0C9004E, 0x00003301
.long 0x86CE4E4A
.long 0x924A02FF, 0x00000100
.long 0xD135002E, 0x00009504
.long 0x245C5C82
.long 0xD100002E, 0x013A5D51
.long 0x245E0882
.long 0xD1FE002D, 0x020A0903
.long 0xD100002D, 0x013A5B51
.long 0xD1196A01, 0x00010301
.long 0xD1340002, 0x00004D02
.long 0xD1340003, 0x00004903
.long 0xD0C9004A, 0x00003100
.long 0xD0C9004E, 0x00003301
.long 0x86CE4E4A
.long 0x924A02FF, 0x00000100
.long 0xD1350032, 0x00009500
.long 0x24646482
.long 0xD1000032, 0x013A6551
.long 0x24660082
.long 0xD1FE0031, 0x020A0103
.long 0xD1000031, 0x013A6351
.long 0xD1196A04, 0x00010300
.long 0xD0C9004A, 0x00003104
.long 0xD0C9004E, 0x00003301
.long 0x86CE4E4A
.long 0x924A02FF, 0x00000100
.long 0xD1350036, 0x00009504
.long 0x246C6C82
.long 0xD1000036, 0x013A6D51
.long 0x246E0882
.long 0xD1FE0035, 0x020A0903
.long 0xD1000035, 0x013A6B51
.long 0xD1196A04, 0x00010500
.long 0xD0C9004A, 0x00003104
.long 0xD0C9004E, 0x00003301
.long 0x86CE4E4A
.long 0x924A02FF, 0x00000100
.long 0xD135003A, 0x00009504
.long 0x24747482
.long 0xD100003A, 0x013A7551
.long 0x24760882
.long 0xD1FE0039, 0x020A0903
.long 0xD1000039, 0x013A7351
.long 0xD1196A04, 0x00010700
.long 0xD0C9004A, 0x00003104
.long 0xD0C9004E, 0x00003301
.long 0x86CE4E4A
.long 0x924A02FF, 0x00000100
.long 0xD135003E, 0x00009504
.long 0x247C7C82
.long 0xD100003E, 0x013A7D51
.long 0x247E0882
.long 0xD1FE003D, 0x020A0903
.long 0xD100003D, 0x013A7B51
	;; [unrolled: 46-line block ×3, first 2 shown]
.long 0xD3D8400E, 0x18000180
.long 0xD3D84014, 0x18000184
.long 0xD3D8401A, 0x18000188
.long 0xD3D84020, 0x1800018C
.long 0xD3D84024, 0x18000181
.long 0xD3D84028, 0x18000185
.long 0xD3D8402C, 0x18000189
.long 0xD3D84030, 0x1800018D
.long 0xD3D84034, 0x18000182
.long 0xD3D84038, 0x18000186
.long 0xD3D8403C, 0x1800018A
.long 0xD3D84040, 0x1800018E
.long 0xD3D84044, 0x18000183
.long 0xD3D84048, 0x18000187
.long 0xD3D8404C, 0x1800018B
.long 0xD3D84050, 0x1800018F
.long 0xBF800001
.long 0x0A1C1C2C
	;; [unrolled: 1-line block ×18, first 2 shown]
.long 0xD0CC0034, 0x00010042
.long 0xD100000D, 0x00D21AF2
.long 0x0A1C1D0D
.long 0x02081D0C
.long 0xBEC81E3E
.long 0x7E1C0304
.long 0xE0701000, 0x80040E09
.long 0xD0CC0034, 0x00010042
.long 0xD1000013, 0x00D226F2
.long 0x0A282913
.long 0x02082912
.long 0xBEC81E3E
.long 0x7E280304
.long 0xE0701000, 0x8004140F
	;; [unrolled: 7-line block ×16, first 2 shown]
.long 0xBF800000
.long 0x7EA202FF, 0x80000000
.long 0xD1196A01, 0x00011B01
.long 0x924A8D26
.long 0xD1340002, 0x00009502
.long 0x924A8D24
.long 0xD1340003, 0x00009503
.long 0xD0C9004A, 0x00003100
.long 0xD0C9004E, 0x00003301
.long 0x86CE4E4A
.long 0x924A02FF, 0x00000100
.long 0xD135000A, 0x00009500
.long 0x24141482
.long 0xD100000A, 0x013A1551
.long 0xD86C0000, 0x0C00000A
.long 0x24160082
.long 0xE0501000, 0x80100D0B
.long 0xD1FE0009, 0x020A0103
.long 0xD1000009, 0x013A1351
.long 0xD1196A04, 0x00010300
.long 0xD0C9004A, 0x00003104
.long 0xD0C9004E, 0x00003301
.long 0x86CE4E4A
.long 0x924A02FF, 0x00000100
.long 0xD1350010, 0x00009504
.long 0x24202082
.long 0xD1000010, 0x013A2151
.long 0xD86C0000, 0x12000010
.long 0x24220882
.long 0xE0501000, 0x80101311
.long 0xD1FE000F, 0x020A0903
.long 0xD100000F, 0x013A1F51
	;; [unrolled: 13-line block ×4, first 2 shown]
.long 0xD1196A01, 0x00010301
.long 0xD1340002, 0x00004D02
.long 0xD1340003, 0x00004903
.long 0xD0C9004A, 0x00003100
.long 0xD0C9004E, 0x00003301
.long 0x86CE4E4A
.long 0x924A02FF, 0x00000100
.long 0xD1350022, 0x00009500
.long 0x24444482
.long 0xD1000022, 0x013A4551
.long 0x24460082
.long 0xD1FE0021, 0x020A0103
.long 0xD1000021, 0x013A4351
.long 0xD1196A04, 0x00010300
.long 0xD0C9004A, 0x00003104
.long 0xD0C9004E, 0x00003301
.long 0x86CE4E4A
.long 0x924A02FF, 0x00000100
.long 0xD1350026, 0x00009504
.long 0x244C4C82
.long 0xD1000026, 0x013A4D51
.long 0x244E0882
.long 0xD1FE0025, 0x020A0903
.long 0xD1000025, 0x013A4B51
.long 0xD1196A04, 0x00010500
.long 0xD0C9004A, 0x00003104
.long 0xD0C9004E, 0x00003301
.long 0x86CE4E4A
.long 0x924A02FF, 0x00000100
.long 0xD135002A, 0x00009504
.long 0x24545482
.long 0xD100002A, 0x013A5551
.long 0x24560882
.long 0xD1FE0029, 0x020A0903
.long 0xD1000029, 0x013A5351
.long 0xD1196A04, 0x00010700
.long 0xD0C9004A, 0x00003104
.long 0xD0C9004E, 0x00003301
.long 0x86CE4E4A
.long 0x924A02FF, 0x00000100
.long 0xD135002E, 0x00009504
.long 0x245C5C82
.long 0xD100002E, 0x013A5D51
.long 0x245E0882
.long 0xD1FE002D, 0x020A0903
.long 0xD100002D, 0x013A5B51
.long 0xD1196A01, 0x00010301
.long 0xD1340002, 0x00004D02
.long 0xD1340003, 0x00004903
.long 0xD0C9004A, 0x00003100
.long 0xD0C9004E, 0x00003301
.long 0x86CE4E4A
.long 0x924A02FF, 0x00000100
.long 0xD1350032, 0x00009500
.long 0x24646482
.long 0xD1000032, 0x013A6551
.long 0x24660082
.long 0xD1FE0031, 0x020A0103
.long 0xD1000031, 0x013A6351
.long 0xD1196A04, 0x00010300
.long 0xD0C9004A, 0x00003104
.long 0xD0C9004E, 0x00003301
.long 0x86CE4E4A
.long 0x924A02FF, 0x00000100
.long 0xD1350036, 0x00009504
.long 0x246C6C82
.long 0xD1000036, 0x013A6D51
.long 0x246E0882
.long 0xD1FE0035, 0x020A0903
.long 0xD1000035, 0x013A6B51
.long 0xD1196A04, 0x00010500
.long 0xD0C9004A, 0x00003104
.long 0xD0C9004E, 0x00003301
.long 0x86CE4E4A
.long 0x924A02FF, 0x00000100
.long 0xD135003A, 0x00009504
.long 0x24747482
.long 0xD100003A, 0x013A7551
.long 0x24760882
.long 0xD1FE0039, 0x020A0903
.long 0xD1000039, 0x013A7351
.long 0xD1196A04, 0x00010700
.long 0xD0C9004A, 0x00003104
.long 0xD0C9004E, 0x00003301
.long 0x86CE4E4A
.long 0x924A02FF, 0x00000100
.long 0xD135003E, 0x00009504
.long 0x247C7C82
.long 0xD100003E, 0x013A7D51
.long 0x247E0882
.long 0xD1FE003D, 0x020A0903
.long 0xD100003D, 0x013A7B51
	;; [unrolled: 46-line block ×3, first 2 shown]
.long 0xD3D8400E, 0x18000190
.long 0xD3D84014, 0x18000194
.long 0xD3D8401A, 0x18000198
.long 0xD3D84020, 0x1800019C
.long 0xD3D84024, 0x18000191
.long 0xD3D84028, 0x18000195
.long 0xD3D8402C, 0x18000199
.long 0xD3D84030, 0x1800019D
.long 0xD3D84034, 0x18000192
.long 0xD3D84038, 0x18000196
.long 0xD3D8403C, 0x1800019A
.long 0xD3D84040, 0x1800019E
.long 0xD3D84044, 0x18000193
.long 0xD3D84048, 0x18000197
.long 0xD3D8404C, 0x1800019B
.long 0xD3D84050, 0x1800019F
.long 0xBF800001
.long 0x0A1C1C2C
	;; [unrolled: 1-line block ×18, first 2 shown]
.long 0xD0CC0034, 0x00010042
.long 0xD100000D, 0x00D21AF2
.long 0x0A1C1D0D
.long 0x02081D0C
.long 0xBEC81E3E
.long 0x7E1C0304
.long 0xE0701000, 0x80040E09
.long 0xD0CC0034, 0x00010042
.long 0xD1000013, 0x00D226F2
.long 0x0A282913
.long 0x02082912
.long 0xBEC81E3E
.long 0x7E280304
.long 0xE0701000, 0x8004140F
	;; [unrolled: 7-line block ×16, first 2 shown]
.long 0xBF800000
.long 0x7EA202FF, 0x80000000
.long 0xD1196A01, 0x00011B01
.long 0x924A8D26
.long 0xD1340002, 0x00009502
.long 0x924A8D24
.long 0xD1340003, 0x00009503
.long 0xD0C9004A, 0x00003100
.long 0xD0C9004E, 0x00003301
.long 0x86CE4E4A
.long 0x924A02FF, 0x00000100
.long 0xD135000A, 0x00009500
.long 0x24141482
.long 0xD100000A, 0x013A1551
.long 0xD86C0000, 0x0C00000A
.long 0x24160082
.long 0xE0501000, 0x80100D0B
.long 0xD1FE0009, 0x020A0103
.long 0xD1000009, 0x013A1351
.long 0xD1196A04, 0x00010300
.long 0xD0C9004A, 0x00003104
.long 0xD0C9004E, 0x00003301
.long 0x86CE4E4A
.long 0x924A02FF, 0x00000100
.long 0xD1350010, 0x00009504
.long 0x24202082
.long 0xD1000010, 0x013A2151
.long 0xD86C0000, 0x12000010
.long 0x24220882
.long 0xE0501000, 0x80101311
.long 0xD1FE000F, 0x020A0903
.long 0xD100000F, 0x013A1F51
	;; [unrolled: 13-line block ×4, first 2 shown]
.long 0xD1196A01, 0x00010301
.long 0xD1340002, 0x00004D02
.long 0xD1340003, 0x00004903
.long 0xD0C9004A, 0x00003100
.long 0xD0C9004E, 0x00003301
.long 0x86CE4E4A
.long 0x924A02FF, 0x00000100
.long 0xD1350022, 0x00009500
.long 0x24444482
.long 0xD1000022, 0x013A4551
.long 0x24460082
.long 0xD1FE0021, 0x020A0103
.long 0xD1000021, 0x013A4351
.long 0xD1196A04, 0x00010300
.long 0xD0C9004A, 0x00003104
.long 0xD0C9004E, 0x00003301
.long 0x86CE4E4A
.long 0x924A02FF, 0x00000100
.long 0xD1350026, 0x00009504
.long 0x244C4C82
.long 0xD1000026, 0x013A4D51
.long 0x244E0882
.long 0xD1FE0025, 0x020A0903
.long 0xD1000025, 0x013A4B51
.long 0xD1196A04, 0x00010500
.long 0xD0C9004A, 0x00003104
.long 0xD0C9004E, 0x00003301
.long 0x86CE4E4A
.long 0x924A02FF, 0x00000100
.long 0xD135002A, 0x00009504
.long 0x24545482
.long 0xD100002A, 0x013A5551
.long 0x24560882
.long 0xD1FE0029, 0x020A0903
.long 0xD1000029, 0x013A5351
.long 0xD1196A04, 0x00010700
.long 0xD0C9004A, 0x00003104
.long 0xD0C9004E, 0x00003301
.long 0x86CE4E4A
.long 0x924A02FF, 0x00000100
.long 0xD135002E, 0x00009504
.long 0x245C5C82
.long 0xD100002E, 0x013A5D51
.long 0x245E0882
.long 0xD1FE002D, 0x020A0903
.long 0xD100002D, 0x013A5B51
.long 0xD1196A01, 0x00010301
.long 0xD1340002, 0x00004D02
.long 0xD1340003, 0x00004903
.long 0xD0C9004A, 0x00003100
.long 0xD0C9004E, 0x00003301
.long 0x86CE4E4A
.long 0x924A02FF, 0x00000100
.long 0xD1350032, 0x00009500
.long 0x24646482
.long 0xD1000032, 0x013A6551
.long 0x24660082
.long 0xD1FE0031, 0x020A0103
.long 0xD1000031, 0x013A6351
.long 0xD1196A04, 0x00010300
.long 0xD0C9004A, 0x00003104
.long 0xD0C9004E, 0x00003301
.long 0x86CE4E4A
.long 0x924A02FF, 0x00000100
.long 0xD1350036, 0x00009504
.long 0x246C6C82
.long 0xD1000036, 0x013A6D51
.long 0x246E0882
.long 0xD1FE0035, 0x020A0903
.long 0xD1000035, 0x013A6B51
.long 0xD1196A04, 0x00010500
.long 0xD0C9004A, 0x00003104
.long 0xD0C9004E, 0x00003301
.long 0x86CE4E4A
.long 0x924A02FF, 0x00000100
.long 0xD135003A, 0x00009504
.long 0x24747482
.long 0xD100003A, 0x013A7551
.long 0x24760882
.long 0xD1FE0039, 0x020A0903
.long 0xD1000039, 0x013A7351
.long 0xD1196A04, 0x00010700
.long 0xD0C9004A, 0x00003104
.long 0xD0C9004E, 0x00003301
.long 0x86CE4E4A
.long 0x924A02FF, 0x00000100
.long 0xD135003E, 0x00009504
.long 0x247C7C82
.long 0xD100003E, 0x013A7D51
.long 0x247E0882
.long 0xD1FE003D, 0x020A0903
.long 0xD100003D, 0x013A7B51
	;; [unrolled: 46-line block ×3, first 2 shown]
.long 0xD3D8400E, 0x180001A0
.long 0xD3D84014, 0x180001A4
	;; [unrolled: 1-line block ×16, first 2 shown]
.long 0xBF800001
.long 0x0A1C1C2C
	;; [unrolled: 1-line block ×18, first 2 shown]
.long 0xD0CC0034, 0x00010042
.long 0xD100000D, 0x00D21AF2
.long 0x0A1C1D0D
.long 0x02081D0C
.long 0xBEC81E3E
.long 0x7E1C0304
.long 0xE0701000, 0x80040E09
.long 0xD0CC0034, 0x00010042
.long 0xD1000013, 0x00D226F2
.long 0x0A282913
.long 0x02082912
.long 0xBEC81E3E
.long 0x7E280304
.long 0xE0701000, 0x8004140F
	;; [unrolled: 7-line block ×16, first 2 shown]
.long 0xBF800000
.long 0x7EA202FF, 0x80000000
.long 0xD1196A01, 0x00011B01
.long 0x924A8D26
.long 0xD1340002, 0x00009502
.long 0x924A8D24
.long 0xD1340003, 0x00009503
.long 0xD0C9004A, 0x00003100
.long 0xD0C9004E, 0x00003301
.long 0x86CE4E4A
.long 0x924A02FF, 0x00000100
.long 0xD135000A, 0x00009500
.long 0x24141482
.long 0xD100000A, 0x013A1551
.long 0xD86C0000, 0x0C00000A
.long 0x24160082
.long 0xE0501000, 0x80100D0B
.long 0xD1FE0009, 0x020A0103
.long 0xD1000009, 0x013A1351
.long 0xD1196A04, 0x00010300
.long 0xD0C9004A, 0x00003104
.long 0xD0C9004E, 0x00003301
.long 0x86CE4E4A
.long 0x924A02FF, 0x00000100
.long 0xD1350010, 0x00009504
.long 0x24202082
.long 0xD1000010, 0x013A2151
.long 0xD86C0000, 0x12000010
.long 0x24220882
.long 0xE0501000, 0x80101311
.long 0xD1FE000F, 0x020A0903
.long 0xD100000F, 0x013A1F51
	;; [unrolled: 13-line block ×4, first 2 shown]
.long 0xD1196A01, 0x00010301
.long 0xD1340002, 0x00004D02
.long 0xD1340003, 0x00004903
.long 0xD0C9004A, 0x00003100
.long 0xD0C9004E, 0x00003301
.long 0x86CE4E4A
.long 0x924A02FF, 0x00000100
.long 0xD1350022, 0x00009500
.long 0x24444482
.long 0xD1000022, 0x013A4551
.long 0x24460082
.long 0xD1FE0021, 0x020A0103
.long 0xD1000021, 0x013A4351
.long 0xD1196A04, 0x00010300
.long 0xD0C9004A, 0x00003104
.long 0xD0C9004E, 0x00003301
.long 0x86CE4E4A
.long 0x924A02FF, 0x00000100
.long 0xD1350026, 0x00009504
.long 0x244C4C82
.long 0xD1000026, 0x013A4D51
.long 0x244E0882
.long 0xD1FE0025, 0x020A0903
.long 0xD1000025, 0x013A4B51
.long 0xD1196A04, 0x00010500
.long 0xD0C9004A, 0x00003104
.long 0xD0C9004E, 0x00003301
.long 0x86CE4E4A
.long 0x924A02FF, 0x00000100
.long 0xD135002A, 0x00009504
.long 0x24545482
.long 0xD100002A, 0x013A5551
.long 0x24560882
.long 0xD1FE0029, 0x020A0903
.long 0xD1000029, 0x013A5351
.long 0xD1196A04, 0x00010700
.long 0xD0C9004A, 0x00003104
.long 0xD0C9004E, 0x00003301
.long 0x86CE4E4A
.long 0x924A02FF, 0x00000100
.long 0xD135002E, 0x00009504
.long 0x245C5C82
.long 0xD100002E, 0x013A5D51
.long 0x245E0882
.long 0xD1FE002D, 0x020A0903
.long 0xD100002D, 0x013A5B51
.long 0xD1196A01, 0x00010301
.long 0xD1340002, 0x00004D02
.long 0xD1340003, 0x00004903
.long 0xD0C9004A, 0x00003100
.long 0xD0C9004E, 0x00003301
.long 0x86CE4E4A
.long 0x924A02FF, 0x00000100
.long 0xD1350032, 0x00009500
.long 0x24646482
.long 0xD1000032, 0x013A6551
.long 0x24660082
.long 0xD1FE0031, 0x020A0103
.long 0xD1000031, 0x013A6351
.long 0xD1196A04, 0x00010300
.long 0xD0C9004A, 0x00003104
.long 0xD0C9004E, 0x00003301
.long 0x86CE4E4A
.long 0x924A02FF, 0x00000100
.long 0xD1350036, 0x00009504
.long 0x246C6C82
.long 0xD1000036, 0x013A6D51
.long 0x246E0882
.long 0xD1FE0035, 0x020A0903
.long 0xD1000035, 0x013A6B51
.long 0xD1196A04, 0x00010500
.long 0xD0C9004A, 0x00003104
.long 0xD0C9004E, 0x00003301
.long 0x86CE4E4A
.long 0x924A02FF, 0x00000100
.long 0xD135003A, 0x00009504
.long 0x24747482
.long 0xD100003A, 0x013A7551
.long 0x24760882
.long 0xD1FE0039, 0x020A0903
.long 0xD1000039, 0x013A7351
.long 0xD1196A04, 0x00010700
.long 0xD0C9004A, 0x00003104
.long 0xD0C9004E, 0x00003301
.long 0x86CE4E4A
.long 0x924A02FF, 0x00000100
.long 0xD135003E, 0x00009504
.long 0x247C7C82
.long 0xD100003E, 0x013A7D51
.long 0x247E0882
.long 0xD1FE003D, 0x020A0903
.long 0xD100003D, 0x013A7B51
	;; [unrolled: 46-line block ×3, first 2 shown]
.long 0xD3D8400E, 0x180001B0
.long 0xD3D84014, 0x180001B4
	;; [unrolled: 1-line block ×16, first 2 shown]
.long 0xBF800001
.long 0x0A1C1C2C
	;; [unrolled: 1-line block ×18, first 2 shown]
.long 0xD0CC0034, 0x00010042
.long 0xD100000D, 0x00D21AF2
.long 0x0A1C1D0D
.long 0x02081D0C
.long 0xBEC81E3E
.long 0x7E1C0304
.long 0xE0701000, 0x80040E09
.long 0xD0CC0034, 0x00010042
.long 0xD1000013, 0x00D226F2
.long 0x0A282913
.long 0x02082912
.long 0xBEC81E3E
.long 0x7E280304
.long 0xE0701000, 0x8004140F
	;; [unrolled: 7-line block ×16, first 2 shown]
.long 0xBF800000
.long 0x7EA202FF, 0x80000000
.long 0xD1196A01, 0x00011B01
.long 0x924A8D26
.long 0xD1340002, 0x00009502
.long 0x924A8D24
.long 0xD1340003, 0x00009503
.long 0xD0C9004A, 0x00003100
.long 0xD0C9004E, 0x00003301
.long 0x86CE4E4A
.long 0x924A02FF, 0x00000100
.long 0xD135000A, 0x00009500
.long 0x24141482
.long 0xD100000A, 0x013A1551
.long 0xD86C0000, 0x0C00000A
.long 0x24160082
.long 0xE0501000, 0x80100D0B
.long 0xD1FE0009, 0x020A0103
.long 0xD1000009, 0x013A1351
.long 0xD1196A04, 0x00010300
.long 0xD0C9004A, 0x00003104
.long 0xD0C9004E, 0x00003301
.long 0x86CE4E4A
.long 0x924A02FF, 0x00000100
.long 0xD1350010, 0x00009504
.long 0x24202082
.long 0xD1000010, 0x013A2151
.long 0xD86C0000, 0x12000010
.long 0x24220882
.long 0xE0501000, 0x80101311
.long 0xD1FE000F, 0x020A0903
.long 0xD100000F, 0x013A1F51
	;; [unrolled: 13-line block ×4, first 2 shown]
.long 0xD1196A01, 0x00010301
.long 0xD1340002, 0x00004D02
.long 0xD1340003, 0x00004903
.long 0xD0C9004A, 0x00003100
.long 0xD0C9004E, 0x00003301
.long 0x86CE4E4A
.long 0x924A02FF, 0x00000100
.long 0xD1350022, 0x00009500
.long 0x24444482
.long 0xD1000022, 0x013A4551
.long 0x24460082
.long 0xD1FE0021, 0x020A0103
.long 0xD1000021, 0x013A4351
.long 0xD1196A04, 0x00010300
.long 0xD0C9004A, 0x00003104
.long 0xD0C9004E, 0x00003301
.long 0x86CE4E4A
.long 0x924A02FF, 0x00000100
.long 0xD1350026, 0x00009504
.long 0x244C4C82
.long 0xD1000026, 0x013A4D51
.long 0x244E0882
.long 0xD1FE0025, 0x020A0903
.long 0xD1000025, 0x013A4B51
.long 0xD1196A04, 0x00010500
.long 0xD0C9004A, 0x00003104
.long 0xD0C9004E, 0x00003301
.long 0x86CE4E4A
.long 0x924A02FF, 0x00000100
.long 0xD135002A, 0x00009504
.long 0x24545482
.long 0xD100002A, 0x013A5551
.long 0x24560882
.long 0xD1FE0029, 0x020A0903
.long 0xD1000029, 0x013A5351
.long 0xD1196A04, 0x00010700
.long 0xD0C9004A, 0x00003104
.long 0xD0C9004E, 0x00003301
.long 0x86CE4E4A
.long 0x924A02FF, 0x00000100
.long 0xD135002E, 0x00009504
.long 0x245C5C82
.long 0xD100002E, 0x013A5D51
.long 0x245E0882
.long 0xD1FE002D, 0x020A0903
.long 0xD100002D, 0x013A5B51
.long 0xD1196A01, 0x00010301
.long 0xD1340002, 0x00004D02
.long 0xD1340003, 0x00004903
.long 0xD0C9004A, 0x00003100
.long 0xD0C9004E, 0x00003301
.long 0x86CE4E4A
.long 0x924A02FF, 0x00000100
.long 0xD1350032, 0x00009500
.long 0x24646482
.long 0xD1000032, 0x013A6551
.long 0x24660082
.long 0xD1FE0031, 0x020A0103
.long 0xD1000031, 0x013A6351
.long 0xD1196A04, 0x00010300
.long 0xD0C9004A, 0x00003104
.long 0xD0C9004E, 0x00003301
.long 0x86CE4E4A
.long 0x924A02FF, 0x00000100
.long 0xD1350036, 0x00009504
.long 0x246C6C82
.long 0xD1000036, 0x013A6D51
.long 0x246E0882
.long 0xD1FE0035, 0x020A0903
.long 0xD1000035, 0x013A6B51
.long 0xD1196A04, 0x00010500
.long 0xD0C9004A, 0x00003104
.long 0xD0C9004E, 0x00003301
.long 0x86CE4E4A
.long 0x924A02FF, 0x00000100
.long 0xD135003A, 0x00009504
.long 0x24747482
.long 0xD100003A, 0x013A7551
.long 0x24760882
.long 0xD1FE0039, 0x020A0903
.long 0xD1000039, 0x013A7351
.long 0xD1196A04, 0x00010700
.long 0xD0C9004A, 0x00003104
.long 0xD0C9004E, 0x00003301
.long 0x86CE4E4A
.long 0x924A02FF, 0x00000100
.long 0xD135003E, 0x00009504
.long 0x247C7C82
.long 0xD100003E, 0x013A7D51
.long 0x247E0882
.long 0xD1FE003D, 0x020A0903
.long 0xD100003D, 0x013A7B51
	;; [unrolled: 46-line block ×3, first 2 shown]
.long 0xD3D8400E, 0x180001C0
.long 0xD3D84014, 0x180001C4
	;; [unrolled: 1-line block ×16, first 2 shown]
.long 0xBF800001
.long 0x0A1C1C2C
	;; [unrolled: 1-line block ×18, first 2 shown]
.long 0xD0CC0034, 0x00010042
.long 0xD100000D, 0x00D21AF2
.long 0x0A1C1D0D
.long 0x02081D0C
.long 0xBEC81E3E
.long 0x7E1C0304
.long 0xE0701000, 0x80040E09
.long 0xD0CC0034, 0x00010042
.long 0xD1000013, 0x00D226F2
.long 0x0A282913
.long 0x02082912
.long 0xBEC81E3E
.long 0x7E280304
.long 0xE0701000, 0x8004140F
	;; [unrolled: 7-line block ×16, first 2 shown]
.long 0xBF800000
.long 0x7EA202FF, 0x80000000
.long 0xD1196A01, 0x00011B01
.long 0x924A8D26
.long 0xD1340002, 0x00009502
.long 0x924A8D24
.long 0xD1340003, 0x00009503
.long 0xD0C9004A, 0x00003100
.long 0xD0C9004E, 0x00003301
.long 0x86CE4E4A
.long 0x924A02FF, 0x00000100
.long 0xD135000A, 0x00009500
.long 0x24141482
.long 0xD100000A, 0x013A1551
.long 0xD86C0000, 0x0C00000A
.long 0x24160082
.long 0xE0501000, 0x80100D0B
.long 0xD1FE0009, 0x020A0103
.long 0xD1000009, 0x013A1351
.long 0xD1196A04, 0x00010300
.long 0xD0C9004A, 0x00003104
.long 0xD0C9004E, 0x00003301
.long 0x86CE4E4A
.long 0x924A02FF, 0x00000100
.long 0xD1350010, 0x00009504
.long 0x24202082
.long 0xD1000010, 0x013A2151
.long 0xD86C0000, 0x12000010
.long 0x24220882
.long 0xE0501000, 0x80101311
.long 0xD1FE000F, 0x020A0903
.long 0xD100000F, 0x013A1F51
	;; [unrolled: 13-line block ×4, first 2 shown]
.long 0xD1196A01, 0x00010301
.long 0xD1340002, 0x00004D02
.long 0xD1340003, 0x00004903
.long 0xD0C9004A, 0x00003100
.long 0xD0C9004E, 0x00003301
.long 0x86CE4E4A
.long 0x924A02FF, 0x00000100
.long 0xD1350022, 0x00009500
.long 0x24444482
.long 0xD1000022, 0x013A4551
.long 0x24460082
.long 0xD1FE0021, 0x020A0103
.long 0xD1000021, 0x013A4351
.long 0xD1196A04, 0x00010300
.long 0xD0C9004A, 0x00003104
.long 0xD0C9004E, 0x00003301
.long 0x86CE4E4A
.long 0x924A02FF, 0x00000100
.long 0xD1350026, 0x00009504
.long 0x244C4C82
.long 0xD1000026, 0x013A4D51
.long 0x244E0882
.long 0xD1FE0025, 0x020A0903
.long 0xD1000025, 0x013A4B51
.long 0xD1196A04, 0x00010500
.long 0xD0C9004A, 0x00003104
.long 0xD0C9004E, 0x00003301
.long 0x86CE4E4A
.long 0x924A02FF, 0x00000100
.long 0xD135002A, 0x00009504
.long 0x24545482
.long 0xD100002A, 0x013A5551
.long 0x24560882
.long 0xD1FE0029, 0x020A0903
.long 0xD1000029, 0x013A5351
.long 0xD1196A04, 0x00010700
.long 0xD0C9004A, 0x00003104
.long 0xD0C9004E, 0x00003301
.long 0x86CE4E4A
.long 0x924A02FF, 0x00000100
.long 0xD135002E, 0x00009504
.long 0x245C5C82
.long 0xD100002E, 0x013A5D51
.long 0x245E0882
.long 0xD1FE002D, 0x020A0903
.long 0xD100002D, 0x013A5B51
.long 0xD1196A01, 0x00010301
.long 0xD1340002, 0x00004D02
.long 0xD1340003, 0x00004903
.long 0xD0C9004A, 0x00003100
.long 0xD0C9004E, 0x00003301
.long 0x86CE4E4A
.long 0x924A02FF, 0x00000100
.long 0xD1350032, 0x00009500
.long 0x24646482
.long 0xD1000032, 0x013A6551
.long 0x24660082
.long 0xD1FE0031, 0x020A0103
.long 0xD1000031, 0x013A6351
.long 0xD1196A04, 0x00010300
.long 0xD0C9004A, 0x00003104
.long 0xD0C9004E, 0x00003301
.long 0x86CE4E4A
.long 0x924A02FF, 0x00000100
.long 0xD1350036, 0x00009504
.long 0x246C6C82
.long 0xD1000036, 0x013A6D51
.long 0x246E0882
.long 0xD1FE0035, 0x020A0903
.long 0xD1000035, 0x013A6B51
.long 0xD1196A04, 0x00010500
.long 0xD0C9004A, 0x00003104
.long 0xD0C9004E, 0x00003301
.long 0x86CE4E4A
.long 0x924A02FF, 0x00000100
.long 0xD135003A, 0x00009504
.long 0x24747482
.long 0xD100003A, 0x013A7551
.long 0x24760882
.long 0xD1FE0039, 0x020A0903
.long 0xD1000039, 0x013A7351
.long 0xD1196A04, 0x00010700
.long 0xD0C9004A, 0x00003104
.long 0xD0C9004E, 0x00003301
.long 0x86CE4E4A
.long 0x924A02FF, 0x00000100
.long 0xD135003E, 0x00009504
.long 0x247C7C82
.long 0xD100003E, 0x013A7D51
.long 0x247E0882
.long 0xD1FE003D, 0x020A0903
.long 0xD100003D, 0x013A7B51
	;; [unrolled: 46-line block ×3, first 2 shown]
.long 0xD3D8400E, 0x180001D0
.long 0xD3D84014, 0x180001D4
	;; [unrolled: 1-line block ×16, first 2 shown]
.long 0xBF800001
.long 0x0A1C1C2C
	;; [unrolled: 1-line block ×18, first 2 shown]
.long 0xD0CC0034, 0x00010042
.long 0xD100000D, 0x00D21AF2
.long 0x0A1C1D0D
.long 0x02081D0C
.long 0xBEC81E3E
.long 0x7E1C0304
.long 0xE0701000, 0x80040E09
.long 0xD0CC0034, 0x00010042
.long 0xD1000013, 0x00D226F2
.long 0x0A282913
.long 0x02082912
.long 0xBEC81E3E
.long 0x7E280304
.long 0xE0701000, 0x8004140F
	;; [unrolled: 7-line block ×16, first 2 shown]
.long 0xBF800000
.long 0x7EA202FF, 0x80000000
.long 0xD1196A01, 0x00011B01
.long 0x924A8D26
.long 0xD1340002, 0x00009502
.long 0x924A8D24
.long 0xD1340003, 0x00009503
.long 0xD0C9004A, 0x00003100
.long 0xD0C9004E, 0x00003301
.long 0x86CE4E4A
.long 0x924A02FF, 0x00000100
.long 0xD135000A, 0x00009500
.long 0x24141482
.long 0xD100000A, 0x013A1551
.long 0xD86C0000, 0x0C00000A
.long 0x24160082
.long 0xE0501000, 0x80100D0B
.long 0xD1FE0009, 0x020A0103
.long 0xD1000009, 0x013A1351
.long 0xD1196A04, 0x00010300
.long 0xD0C9004A, 0x00003104
.long 0xD0C9004E, 0x00003301
.long 0x86CE4E4A
.long 0x924A02FF, 0x00000100
.long 0xD1350010, 0x00009504
.long 0x24202082
.long 0xD1000010, 0x013A2151
.long 0xD86C0000, 0x12000010
.long 0x24220882
.long 0xE0501000, 0x80101311
.long 0xD1FE000F, 0x020A0903
.long 0xD100000F, 0x013A1F51
.long 0xD1196A04, 0x00010500
.long 0xD0C9004A, 0x00003104
.long 0xD0C9004E, 0x00003301
.long 0x86CE4E4A
.long 0x924A02FF, 0x00000100
.long 0xD1350016, 0x00009504
.long 0x242C2C82
.long 0xD1000016, 0x013A2D51
.long 0xD86C0000, 0x18000016
.long 0x242E0882
.long 0xE0501000, 0x80101917
.long 0xD1FE0015, 0x020A0903
.long 0xD1000015, 0x013A2B51
.long 0xD1196A04, 0x00010700
.long 0xD0C9004A, 0x00003104
.long 0xD0C9004E, 0x00003301
.long 0x86CE4E4A
.long 0x924A02FF, 0x00000100
.long 0xD135001C, 0x00009504
.long 0x24383882
.long 0xD100001C, 0x013A3951
.long 0xD86C0000, 0x1E00001C
.long 0x243A0882
.long 0xE0501000, 0x80101F1D
.long 0xD1FE001B, 0x020A0903
.long 0xD100001B, 0x013A3751
.long 0xD1196A01, 0x00010301
.long 0xD1340002, 0x00004D02
.long 0xD1340003, 0x00004903
.long 0xD0C9004A, 0x00003100
.long 0xD0C9004E, 0x00003301
.long 0x86CE4E4A
.long 0x924A02FF, 0x00000100
.long 0xD1350022, 0x00009500
.long 0x24444482
.long 0xD1000022, 0x013A4551
.long 0x24460082
.long 0xD1FE0021, 0x020A0103
.long 0xD1000021, 0x013A4351
.long 0xD1196A04, 0x00010300
.long 0xD0C9004A, 0x00003104
.long 0xD0C9004E, 0x00003301
.long 0x86CE4E4A
.long 0x924A02FF, 0x00000100
.long 0xD1350026, 0x00009504
.long 0x244C4C82
.long 0xD1000026, 0x013A4D51
.long 0x244E0882
.long 0xD1FE0025, 0x020A0903
.long 0xD1000025, 0x013A4B51
.long 0xD1196A04, 0x00010500
.long 0xD0C9004A, 0x00003104
.long 0xD0C9004E, 0x00003301
.long 0x86CE4E4A
.long 0x924A02FF, 0x00000100
.long 0xD135002A, 0x00009504
.long 0x24545482
.long 0xD100002A, 0x013A5551
.long 0x24560882
.long 0xD1FE0029, 0x020A0903
.long 0xD1000029, 0x013A5351
.long 0xD1196A04, 0x00010700
.long 0xD0C9004A, 0x00003104
.long 0xD0C9004E, 0x00003301
.long 0x86CE4E4A
.long 0x924A02FF, 0x00000100
.long 0xD135002E, 0x00009504
.long 0x245C5C82
.long 0xD100002E, 0x013A5D51
.long 0x245E0882
.long 0xD1FE002D, 0x020A0903
.long 0xD100002D, 0x013A5B51
.long 0xD1196A01, 0x00010301
.long 0xD1340002, 0x00004D02
.long 0xD1340003, 0x00004903
.long 0xD0C9004A, 0x00003100
.long 0xD0C9004E, 0x00003301
.long 0x86CE4E4A
.long 0x924A02FF, 0x00000100
.long 0xD1350032, 0x00009500
.long 0x24646482
.long 0xD1000032, 0x013A6551
.long 0x24660082
.long 0xD1FE0031, 0x020A0103
.long 0xD1000031, 0x013A6351
.long 0xD1196A04, 0x00010300
.long 0xD0C9004A, 0x00003104
.long 0xD0C9004E, 0x00003301
.long 0x86CE4E4A
.long 0x924A02FF, 0x00000100
.long 0xD1350036, 0x00009504
.long 0x246C6C82
.long 0xD1000036, 0x013A6D51
.long 0x246E0882
.long 0xD1FE0035, 0x020A0903
.long 0xD1000035, 0x013A6B51
.long 0xD1196A04, 0x00010500
.long 0xD0C9004A, 0x00003104
.long 0xD0C9004E, 0x00003301
.long 0x86CE4E4A
.long 0x924A02FF, 0x00000100
.long 0xD135003A, 0x00009504
.long 0x24747482
.long 0xD100003A, 0x013A7551
.long 0x24760882
.long 0xD1FE0039, 0x020A0903
.long 0xD1000039, 0x013A7351
.long 0xD1196A04, 0x00010700
.long 0xD0C9004A, 0x00003104
.long 0xD0C9004E, 0x00003301
.long 0x86CE4E4A
.long 0x924A02FF, 0x00000100
.long 0xD135003E, 0x00009504
.long 0x247C7C82
.long 0xD100003E, 0x013A7D51
.long 0x247E0882
.long 0xD1FE003D, 0x020A0903
.long 0xD100003D, 0x013A7B51
	;; [unrolled: 46-line block ×3, first 2 shown]
.long 0xD3D8400E, 0x180001E0
.long 0xD3D84014, 0x180001E4
	;; [unrolled: 1-line block ×16, first 2 shown]
.long 0xBF800001
.long 0x0A1C1C2C
.long 0x0A28282C
.long 0x0A34342C
.long 0x0A40402C
.long 0x0A48482C
.long 0x0A50502C
.long 0x0A58582C
.long 0x0A60602C
.long 0x0A68682C
.long 0x0A70702C
.long 0x0A78782C
.long 0x0A80802C
.long 0x0A88882C
.long 0x0A90902C
.long 0x0A98982C
.long 0x0AA0A02C
.long 0xBF8C0000
.long 0xD0CC0034, 0x00010042
.long 0xD100000D, 0x00D21AF2
.long 0x0A1C1D0D
.long 0x02081D0C
.long 0xBEC81E3E
.long 0x7E1C0304
.long 0xE0701000, 0x80040E09
.long 0xD0CC0034, 0x00010042
.long 0xD1000013, 0x00D226F2
.long 0x0A282913
.long 0x02082912
.long 0xBEC81E3E
.long 0x7E280304
.long 0xE0701000, 0x8004140F
	;; [unrolled: 7-line block ×16, first 2 shown]
.long 0xBF800000
.long 0x7EA202FF, 0x80000000
.long 0xD1196A01, 0x00011B01
.long 0x924A8D26
.long 0xD1340002, 0x00009502
.long 0x924A8D24
.long 0xD1340003, 0x00009503
.long 0xD0C9004A, 0x00003100
.long 0xD0C9004E, 0x00003301
.long 0x86CE4E4A
.long 0x924A02FF, 0x00000100
.long 0xD135000A, 0x00009500
.long 0x24141482
.long 0xD100000A, 0x013A1551
.long 0xD86C0000, 0x0C00000A
.long 0x24160082
.long 0xE0501000, 0x80100D0B
.long 0xD1FE0009, 0x020A0103
.long 0xD1000009, 0x013A1351
.long 0xD1196A04, 0x00010300
.long 0xD0C9004A, 0x00003104
.long 0xD0C9004E, 0x00003301
.long 0x86CE4E4A
.long 0x924A02FF, 0x00000100
.long 0xD1350010, 0x00009504
.long 0x24202082
.long 0xD1000010, 0x013A2151
.long 0xD86C0000, 0x12000010
.long 0x24220882
.long 0xE0501000, 0x80101311
.long 0xD1FE000F, 0x020A0903
.long 0xD100000F, 0x013A1F51
.long 0xD1196A04, 0x00010500
.long 0xD0C9004A, 0x00003104
.long 0xD0C9004E, 0x00003301
.long 0x86CE4E4A
.long 0x924A02FF, 0x00000100
.long 0xD1350016, 0x00009504
.long 0x242C2C82
.long 0xD1000016, 0x013A2D51
.long 0xD86C0000, 0x18000016
.long 0x242E0882
.long 0xE0501000, 0x80101917
.long 0xD1FE0015, 0x020A0903
.long 0xD1000015, 0x013A2B51
.long 0xD1196A04, 0x00010700
.long 0xD0C9004A, 0x00003104
.long 0xD0C9004E, 0x00003301
.long 0x86CE4E4A
.long 0x924A02FF, 0x00000100
.long 0xD135001C, 0x00009504
.long 0x24383882
.long 0xD100001C, 0x013A3951
.long 0xD86C0000, 0x1E00001C
.long 0x243A0882
.long 0xE0501000, 0x80101F1D
.long 0xD1FE001B, 0x020A0903
.long 0xD100001B, 0x013A3751
.long 0xD1196A01, 0x00010301
.long 0xD1340002, 0x00004D02
.long 0xD1340003, 0x00004903
.long 0xD0C9004A, 0x00003100
.long 0xD0C9004E, 0x00003301
.long 0x86CE4E4A
.long 0x924A02FF, 0x00000100
.long 0xD1350022, 0x00009500
.long 0x24444482
.long 0xD1000022, 0x013A4551
.long 0x24460082
.long 0xD1FE0021, 0x020A0103
.long 0xD1000021, 0x013A4351
.long 0xD1196A04, 0x00010300
.long 0xD0C9004A, 0x00003104
.long 0xD0C9004E, 0x00003301
.long 0x86CE4E4A
.long 0x924A02FF, 0x00000100
.long 0xD1350026, 0x00009504
.long 0x244C4C82
.long 0xD1000026, 0x013A4D51
.long 0x244E0882
.long 0xD1FE0025, 0x020A0903
.long 0xD1000025, 0x013A4B51
.long 0xD1196A04, 0x00010500
.long 0xD0C9004A, 0x00003104
.long 0xD0C9004E, 0x00003301
.long 0x86CE4E4A
.long 0x924A02FF, 0x00000100
.long 0xD135002A, 0x00009504
.long 0x24545482
.long 0xD100002A, 0x013A5551
.long 0x24560882
.long 0xD1FE0029, 0x020A0903
.long 0xD1000029, 0x013A5351
.long 0xD1196A04, 0x00010700
.long 0xD0C9004A, 0x00003104
.long 0xD0C9004E, 0x00003301
.long 0x86CE4E4A
.long 0x924A02FF, 0x00000100
.long 0xD135002E, 0x00009504
.long 0x245C5C82
.long 0xD100002E, 0x013A5D51
.long 0x245E0882
.long 0xD1FE002D, 0x020A0903
.long 0xD100002D, 0x013A5B51
.long 0xD1196A01, 0x00010301
.long 0xD1340002, 0x00004D02
.long 0xD1340003, 0x00004903
.long 0xD0C9004A, 0x00003100
.long 0xD0C9004E, 0x00003301
.long 0x86CE4E4A
.long 0x924A02FF, 0x00000100
.long 0xD1350032, 0x00009500
.long 0x24646482
.long 0xD1000032, 0x013A6551
.long 0x24660082
.long 0xD1FE0031, 0x020A0103
.long 0xD1000031, 0x013A6351
.long 0xD1196A04, 0x00010300
.long 0xD0C9004A, 0x00003104
.long 0xD0C9004E, 0x00003301
.long 0x86CE4E4A
.long 0x924A02FF, 0x00000100
.long 0xD1350036, 0x00009504
.long 0x246C6C82
.long 0xD1000036, 0x013A6D51
.long 0x246E0882
.long 0xD1FE0035, 0x020A0903
.long 0xD1000035, 0x013A6B51
.long 0xD1196A04, 0x00010500
.long 0xD0C9004A, 0x00003104
.long 0xD0C9004E, 0x00003301
.long 0x86CE4E4A
.long 0x924A02FF, 0x00000100
.long 0xD135003A, 0x00009504
.long 0x24747482
.long 0xD100003A, 0x013A7551
.long 0x24760882
.long 0xD1FE0039, 0x020A0903
.long 0xD1000039, 0x013A7351
.long 0xD1196A04, 0x00010700
.long 0xD0C9004A, 0x00003104
.long 0xD0C9004E, 0x00003301
.long 0x86CE4E4A
.long 0x924A02FF, 0x00000100
.long 0xD135003E, 0x00009504
.long 0x247C7C82
.long 0xD100003E, 0x013A7D51
.long 0x247E0882
.long 0xD1FE003D, 0x020A0903
.long 0xD100003D, 0x013A7B51
	;; [unrolled: 46-line block ×3, first 2 shown]
.long 0xD3D8400E, 0x180001F0
.long 0xD3D84014, 0x180001F4
	;; [unrolled: 1-line block ×16, first 2 shown]
.long 0xBF800001
.long 0x0A1C1C2C
	;; [unrolled: 1-line block ×18, first 2 shown]
.long 0xD0CC0034, 0x00010042
.long 0xD100000D, 0x00D21AF2
.long 0x0A1C1D0D
.long 0x02081D0C
.long 0xBEC81E3E
.long 0x7E1C0304
.long 0xE0701000, 0x80040E09
.long 0xD0CC0034, 0x00010042
.long 0xD1000013, 0x00D226F2
.long 0x0A282913
.long 0x02082912
.long 0xBEC81E3E
.long 0x7E280304
.long 0xE0701000, 0x8004140F
	;; [unrolled: 7-line block ×16, first 2 shown]
.long 0xBF800000
.long 0xBF823A8B
.long 0x864A18FF, 0x000000FF
.long 0x804B0DC1
.long 0xBF094B02
	;; [unrolled: 1-line block ×5, first 2 shown]
.long 0x864A19FF, 0x000000FF
.long 0x804B0EC1
.long 0xBF094B03
	;; [unrolled: 1-line block ×22, first 2 shown]
.long 0x810584FF, 0x0000E478
.long 0x803E053E
.long 0x823F803F
.long 0xBF820030
.long 0xBEBE1C00
.long 0x810584FF, 0x0000E464
.long 0x803E053E
.long 0x823F803F
.long 0xBF82002A
.long 0xBEBE1C00
	;; [unrolled: 5-line block ×8, first 2 shown]
.long 0x810584FF, 0x0000E6B8
.long 0x803E053E
.long 0x823F803F
	;; [unrolled: 1-line block ×3, first 2 shown]
.long 0xD1FE000A, 0x020A0102
.long 0xE05C1000, 0x8005100A
.long 0x924A02FF, 0x00000100
.long 0xD135000B, 0x00009500
.long 0x24161682
.long 0xBF8CC07F
	;; [unrolled: 1-line block ×3, first 2 shown]
.long 0xD9FE0000, 0x1400000B
.long 0x24180082
.long 0xE05C1000, 0x8010180C
.long 0x8E4A8226
.long 0x80144A14
.long 0x82158015
.long 0xE05C1000, 0x8005200A
.long 0x8E4A8226
.long 0x80144A14
	;; [unrolled: 4-line block ×13, first 2 shown]
.long 0x82158015
.long 0xE05C1000, 0x8005800A
.long 0xD1FE0009, 0x020A0103
	;; [unrolled: 1-line block ×58, first 2 shown]
.long 0xBF800001
.long 0x0A38382C
.long 0x0A3A3A2C
.long 0x0A3C3C2C
.long 0x0A3E3E2C
.long 0x0A48482C
.long 0x0A4A4A2C
.long 0x0A4C4C2C
.long 0x0A4E4E2C
.long 0x0A58582C
.long 0x0A5A5A2C
.long 0x0A5C5C2C
.long 0x0A5E5E2C
.long 0x0A68682C
.long 0x0A6A6A2C
.long 0x0A6C6C2C
.long 0x0A6E6E2C
.long 0x0A78782C
.long 0x0A7A7A2C
.long 0x0A7C7C2C
.long 0x0A7E7E2C
.long 0x0A88882C
.long 0x0A8A8A2C
.long 0x0A8C8C2C
.long 0x0A8E8E2C
.long 0x0A98982C
.long 0x0A9A9A2C
.long 0x0A9C9C2C
.long 0x0A9E9E2C
.long 0x0AA8A82C
.long 0x0AAAAA2C
.long 0x0AACAC2C
.long 0x0AAEAE2C
.long 0x0AB8B82C
.long 0x0ABABA2C
.long 0x0ABCBC2C
.long 0x0ABEBE2C
.long 0x0AC8C82C
.long 0x0ACACA2C
.long 0x0ACCCC2C
.long 0x0ACECE2C
.long 0x0AD8D82C
.long 0x0ADADA2C
.long 0x0ADCDC2C
.long 0x0ADEDE2C
.long 0x0AE8E82C
.long 0x0AEAEA2C
.long 0x0AECEC2C
.long 0x0AEEEE2C
.long 0x0AF8F82C
.long 0x0AFAFA2C
.long 0x0AFCFC2C
.long 0x0AFEFE2C
.long 0x0B09082C
.long 0x0B0B0A2C
.long 0x0B0D0C2C
.long 0x0B0F0E2C
.long 0xBF8C007D
.long 0xD0CC0034, 0x00010042
.long 0xD1000018, 0x00D230F2
	;; [unrolled: 1-line block ×14, first 2 shown]
.long 0xBEC81E3E
.long 0x7E380304
.long 0x7E3A0305
.long 0x7E3C0306
.long 0x7E3E0307
.long 0xE07C1000, 0x80041C09
.long 0xBF8C0F7D
.long 0xD0CC0034, 0x00010042
.long 0xD1000018, 0x00D230F2
.long 0xD1000019, 0x00D232F2
.long 0xD3B14024, 0x18024918
.long 0xD0CC0034, 0x00010042
.long 0xD100001A, 0x00D234F2
.long 0xD100001B, 0x00D236F2
.long 0xD3B14026, 0x18024D1A
.long 0xD13B0024, 0x00005B20
.long 0xD13B0025, 0x00005B21
.long 0xD13B0026, 0x00005B22
.long 0xD13B0027, 0x00005B23
.long 0xD3B24004, 0x18024914
.long 0xD3B24006, 0x18024D16
.long 0xBEC81E3E
.long 0x7E480304
.long 0x7E4A0305
.long 0x7E4C0306
.long 0x7E4E0307
.long 0x8E4A8224
.long 0x80104A10
.long 0x82118011
.long 0xE07C1000, 0x80042409
.long 0xBF8C0F7D
.long 0xD0CC0034, 0x00010042
.long 0xD1000018, 0x00D230F2
.long 0xD1000019, 0x00D232F2
.long 0xD3B1402C, 0x18025918
.long 0xD0CC0034, 0x00010042
.long 0xD100001A, 0x00D234F2
.long 0xD100001B, 0x00D236F2
.long 0xD3B1402E, 0x18025D1A
.long 0xD13B002C, 0x00005B28
.long 0xD13B002D, 0x00005B29
.long 0xD13B002E, 0x00005B2A
.long 0xD13B002F, 0x00005B2B
.long 0xD3B24004, 0x18025914
.long 0xD3B24006, 0x18025D16
.long 0xBEC81E3E
.long 0x7E580304
.long 0x7E5A0305
	;; [unrolled: 24-line block ×13, first 2 shown]
.long 0x7F0C0306
.long 0x7F0E0307
	;; [unrolled: 1-line block ×5, first 2 shown]
.long 0xE07C1000, 0x80048409
.long 0xBF800000
.long 0x8E4A8226
	;; [unrolled: 1-line block ×4, first 2 shown]
.long 0xE05C1000, 0x8005100A
.long 0x924A02FF, 0x00000100
	;; [unrolled: 1-line block ×3, first 2 shown]
.long 0x24161682
.long 0xD9FE0000, 0x1400000B
.long 0xE05C1000, 0x8010180C
.long 0x8E4A8226
.long 0x80144A14
.long 0x82158015
.long 0xE05C1000, 0x8005200A
.long 0x924AB426
.long 0x80144A14
.long 0x82158015
	;; [unrolled: 4-line block ×13, first 2 shown]
.long 0xE05C1000, 0x8005800A
.long 0xD3D8401C, 0x18000132
	;; [unrolled: 1-line block ×57, first 2 shown]
.long 0xBF800001
.long 0x0A38382C
	;; [unrolled: 1-line block ×58, first 2 shown]
.long 0xD0CC0034, 0x00010042
.long 0xD1000018, 0x00D230F2
.long 0xD1000019, 0x00D232F2
.long 0xD3B1401C, 0x18023918
.long 0xD0CC0034, 0x00010042
.long 0xD100001A, 0x00D234F2
.long 0xD100001B, 0x00D236F2
.long 0xD3B1401E, 0x18023D1A
.long 0xD13B001C, 0x00005B10
.long 0xD13B001D, 0x00005B11
.long 0xD13B001E, 0x00005B12
.long 0xD13B001F, 0x00005B13
.long 0xD3B24004, 0x18023914
.long 0xD3B24006, 0x18023D16
.long 0xBEC81E3E
.long 0x7E380304
.long 0x7E3A0305
.long 0x7E3C0306
.long 0x7E3E0307
.long 0x8E4A8224
.long 0x80104A10
.long 0x82118011
.long 0xE07C1000, 0x80041C09
.long 0xBF8C0F7D
.long 0xD0CC0034, 0x00010042
.long 0xD1000018, 0x00D230F2
.long 0xD1000019, 0x00D232F2
.long 0xD3B14024, 0x18024918
.long 0xD0CC0034, 0x00010042
.long 0xD100001A, 0x00D234F2
.long 0xD100001B, 0x00D236F2
.long 0xD3B14026, 0x18024D1A
.long 0xD13B0024, 0x00005B20
.long 0xD13B0025, 0x00005B21
.long 0xD13B0026, 0x00005B22
.long 0xD13B0027, 0x00005B23
.long 0xD3B24004, 0x18024914
.long 0xD3B24006, 0x18024D16
.long 0xBEC81E3E
.long 0x7E480304
.long 0x7E4A0305
.long 0x7E4C0306
.long 0x7E4E0307
.long 0x8E4A8224
.long 0x80104A10
.long 0x82118011
.long 0xE07C1000, 0x80042409
.long 0xBF8C0F7D
.long 0xD0CC0034, 0x00010042
.long 0xD1000018, 0x00D230F2
.long 0xD1000019, 0x00D232F2
.long 0xD3B1402C, 0x18025918
.long 0xD0CC0034, 0x00010042
.long 0xD100001A, 0x00D234F2
.long 0xD100001B, 0x00D236F2
.long 0xD3B1402E, 0x18025D1A
.long 0xD13B002C, 0x00005B28
.long 0xD13B002D, 0x00005B29
.long 0xD13B002E, 0x00005B2A
.long 0xD13B002F, 0x00005B2B
.long 0xD3B24004, 0x18025914
.long 0xD3B24006, 0x18025D16
.long 0xBEC81E3E
.long 0x7E580304
.long 0x7E5A0305
.long 0x7E5C0306
.long 0x7E5E0307
.long 0x924AB424
.long 0x80104A10
.long 0x82118011
.long 0xE07C1000, 0x80042C09
.long 0xBF8C0F7D
.long 0xD0CC0034, 0x00010042
.long 0xD1000018, 0x00D230F2
.long 0xD1000019, 0x00D232F2
.long 0xD3B14034, 0x18026918
.long 0xD0CC0034, 0x00010042
.long 0xD100001A, 0x00D234F2
.long 0xD100001B, 0x00D236F2
.long 0xD3B14036, 0x18026D1A
.long 0xD13B0034, 0x00005B30
.long 0xD13B0035, 0x00005B31
.long 0xD13B0036, 0x00005B32
.long 0xD13B0037, 0x00005B33
.long 0xD3B24004, 0x18026914
.long 0xD3B24006, 0x18026D16
.long 0xBEC81E3E
.long 0x7E680304
.long 0x7E6A0305
.long 0x7E6C0306
.long 0x7E6E0307
.long 0x8E4A8224
.long 0x80104A10
.long 0x82118011
.long 0xE07C1000, 0x80043409
.long 0xBF8C0F7D
.long 0xD0CC0034, 0x00010042
.long 0xD1000018, 0x00D230F2
.long 0xD1000019, 0x00D232F2
.long 0xD3B1403C, 0x18027918
.long 0xD0CC0034, 0x00010042
.long 0xD100001A, 0x00D234F2
.long 0xD100001B, 0x00D236F2
.long 0xD3B1403E, 0x18027D1A
.long 0xD13B003C, 0x00005B38
.long 0xD13B003D, 0x00005B39
.long 0xD13B003E, 0x00005B3A
.long 0xD13B003F, 0x00005B3B
.long 0xD3B24004, 0x18027914
.long 0xD3B24006, 0x18027D16
.long 0xBEC81E3E
.long 0x7E780304
.long 0x7E7A0305
.long 0x7E7C0306
.long 0x7E7E0307
.long 0x8E4A8224
.long 0x80104A10
.long 0x82118011
.long 0xE07C1000, 0x80043C09
.long 0xBF8C0F7D
.long 0xD0CC0034, 0x00010042
.long 0xD1000018, 0x00D230F2
.long 0xD1000019, 0x00D232F2
.long 0xD3B14044, 0x18028918
.long 0xD0CC0034, 0x00010042
.long 0xD100001A, 0x00D234F2
.long 0xD100001B, 0x00D236F2
.long 0xD3B14046, 0x18028D1A
.long 0xD13B0044, 0x00005B40
.long 0xD13B0045, 0x00005B41
.long 0xD13B0046, 0x00005B42
.long 0xD13B0047, 0x00005B43
.long 0xD3B24004, 0x18028914
.long 0xD3B24006, 0x18028D16
.long 0xBEC81E3E
.long 0x7E880304
.long 0x7E8A0305
.long 0x7E8C0306
.long 0x7E8E0307
.long 0x8E4A8224
.long 0x80104A10
.long 0x82118011
.long 0xE07C1000, 0x80044409
.long 0xBF8C0F7D
.long 0xD0CC0034, 0x00010042
.long 0xD1000018, 0x00D230F2
.long 0xD1000019, 0x00D232F2
.long 0xD3B1404C, 0x18029918
.long 0xD0CC0034, 0x00010042
.long 0xD100001A, 0x00D234F2
.long 0xD100001B, 0x00D236F2
.long 0xD3B1404E, 0x18029D1A
.long 0xD13B004C, 0x00005B48
.long 0xD13B004D, 0x00005B49
.long 0xD13B004E, 0x00005B4A
.long 0xD13B004F, 0x00005B4B
.long 0xD3B24004, 0x18029914
.long 0xD3B24006, 0x18029D16
.long 0xBEC81E3E
.long 0x7E980304
.long 0x7E9A0305
.long 0x7E9C0306
.long 0x7E9E0307
.long 0x924AB424
.long 0x80104A10
.long 0x82118011
.long 0xE07C1000, 0x80044C09
.long 0xBF8C0F7D
.long 0xD0CC0034, 0x00010042
.long 0xD1000018, 0x00D230F2
.long 0xD1000019, 0x00D232F2
.long 0xD3B14054, 0x1802A918
.long 0xD0CC0034, 0x00010042
.long 0xD100001A, 0x00D234F2
.long 0xD100001B, 0x00D236F2
.long 0xD3B14056, 0x1802AD1A
.long 0xD13B0054, 0x00005B50
.long 0xD13B0055, 0x00005B51
.long 0xD13B0056, 0x00005B52
.long 0xD13B0057, 0x00005B53
.long 0xD3B24004, 0x1802A914
.long 0xD3B24006, 0x1802AD16
.long 0xBEC81E3E
.long 0x7EA80304
.long 0x7EAA0305
.long 0x7EAC0306
.long 0x7EAE0307
.long 0x8E4A8224
.long 0x80104A10
.long 0x82118011
.long 0xE07C1000, 0x80045409
.long 0xBF8C0F7D
.long 0xD0CC0034, 0x00010042
.long 0xD1000018, 0x00D230F2
.long 0xD1000019, 0x00D232F2
.long 0xD3B1405C, 0x1802B918
.long 0xD0CC0034, 0x00010042
.long 0xD100001A, 0x00D234F2
.long 0xD100001B, 0x00D236F2
.long 0xD3B1405E, 0x1802BD1A
.long 0xD13B005C, 0x00005B58
.long 0xD13B005D, 0x00005B59
.long 0xD13B005E, 0x00005B5A
.long 0xD13B005F, 0x00005B5B
.long 0xD3B24004, 0x1802B914
.long 0xD3B24006, 0x1802BD16
.long 0xBEC81E3E
.long 0x7EB80304
.long 0x7EBA0305
.long 0x7EBC0306
.long 0x7EBE0307
.long 0x8E4A8224
.long 0x80104A10
.long 0x82118011
.long 0xE07C1000, 0x80045C09
.long 0xBF8C0F7D
.long 0xD0CC0034, 0x00010042
.long 0xD1000018, 0x00D230F2
.long 0xD1000019, 0x00D232F2
.long 0xD3B14064, 0x1802C918
.long 0xD0CC0034, 0x00010042
.long 0xD100001A, 0x00D234F2
.long 0xD100001B, 0x00D236F2
.long 0xD3B14066, 0x1802CD1A
.long 0xD13B0064, 0x00005B60
.long 0xD13B0065, 0x00005B61
.long 0xD13B0066, 0x00005B62
.long 0xD13B0067, 0x00005B63
.long 0xD3B24004, 0x1802C914
.long 0xD3B24006, 0x1802CD16
.long 0xBEC81E3E
.long 0x7EC80304
.long 0x7ECA0305
.long 0x7ECC0306
.long 0x7ECE0307
.long 0x8E4A8224
.long 0x80104A10
.long 0x82118011
.long 0xE07C1000, 0x80046409
.long 0xBF8C0F7D
.long 0xD0CC0034, 0x00010042
.long 0xD1000018, 0x00D230F2
.long 0xD1000019, 0x00D232F2
.long 0xD3B1406C, 0x1802D918
.long 0xD0CC0034, 0x00010042
.long 0xD100001A, 0x00D234F2
.long 0xD100001B, 0x00D236F2
.long 0xD3B1406E, 0x1802DD1A
.long 0xD13B006C, 0x00005B68
.long 0xD13B006D, 0x00005B69
.long 0xD13B006E, 0x00005B6A
.long 0xD13B006F, 0x00005B6B
.long 0xD3B24004, 0x1802D914
.long 0xD3B24006, 0x1802DD16
.long 0xBEC81E3E
.long 0x7ED80304
.long 0x7EDA0305
.long 0x7EDC0306
.long 0x7EDE0307
.long 0x924AB424
.long 0x80104A10
.long 0x82118011
.long 0xE07C1000, 0x80046C09
.long 0xBF8C0F7D
.long 0xD0CC0034, 0x00010042
.long 0xD1000018, 0x00D230F2
.long 0xD1000019, 0x00D232F2
.long 0xD3B14074, 0x1802E918
.long 0xD0CC0034, 0x00010042
.long 0xD100001A, 0x00D234F2
.long 0xD100001B, 0x00D236F2
.long 0xD3B14076, 0x1802ED1A
.long 0xD13B0074, 0x00005B70
.long 0xD13B0075, 0x00005B71
.long 0xD13B0076, 0x00005B72
.long 0xD13B0077, 0x00005B73
.long 0xD3B24004, 0x1802E914
.long 0xD3B24006, 0x1802ED16
.long 0xBEC81E3E
.long 0x7EE80304
.long 0x7EEA0305
.long 0x7EEC0306
.long 0x7EEE0307
.long 0x8E4A8224
.long 0x80104A10
.long 0x82118011
.long 0xE07C1000, 0x80047409
.long 0xBF8C0F7D
.long 0xD0CC0034, 0x00010042
.long 0xD1000018, 0x00D230F2
.long 0xD1000019, 0x00D232F2
.long 0xD3B1407C, 0x1802F918
.long 0xD0CC0034, 0x00010042
.long 0xD100001A, 0x00D234F2
.long 0xD100001B, 0x00D236F2
.long 0xD3B1407E, 0x1802FD1A
.long 0xD13B007C, 0x00005B78
.long 0xD13B007D, 0x00005B79
.long 0xD13B007E, 0x00005B7A
.long 0xD13B007F, 0x00005B7B
.long 0xD3B24004, 0x1802F914
.long 0xD3B24006, 0x1802FD16
.long 0xBEC81E3E
.long 0x7EF80304
.long 0x7EFA0305
.long 0x7EFC0306
.long 0x7EFE0307
.long 0x8E4A8224
.long 0x80104A10
.long 0x82118011
.long 0xE07C1000, 0x80047C09
.long 0xBF8C0F7D
.long 0xD0CC0034, 0x00010042
.long 0xD1000018, 0x00D230F2
.long 0xD1000019, 0x00D232F2
.long 0xD3B14084, 0x18030918
.long 0xD0CC0034, 0x00010042
.long 0xD100001A, 0x00D234F2
.long 0xD100001B, 0x00D236F2
.long 0xD3B14086, 0x18030D1A
.long 0xD13B0084, 0x00005B80
.long 0xD13B0085, 0x00005B81
.long 0xD13B0086, 0x00005B82
.long 0xD13B0087, 0x00005B83
.long 0xD3B24004, 0x18030914
.long 0xD3B24006, 0x18030D16
.long 0xBEC81E3E
.long 0x7F080304
.long 0x7F0A0305
.long 0x7F0C0306
.long 0x7F0E0307
.long 0x8E4A8224
.long 0x80104A10
.long 0x82118011
.long 0xE07C1000, 0x80048409
.long 0xBF800000
.long 0x924AB426
.long 0x80144A14
	;; [unrolled: 1-line block ×3, first 2 shown]
.long 0xE05C1000, 0x8005100A
.long 0x924A02FF, 0x00000100
	;; [unrolled: 1-line block ×3, first 2 shown]
.long 0x24161682
.long 0xD9FE0000, 0x1400000B
.long 0xE05C1000, 0x8010180C
.long 0x8E4A8226
.long 0x80144A14
.long 0x82158015
.long 0xE05C1000, 0x8005200A
.long 0x8E4A8226
.long 0x80144A14
.long 0x82158015
	;; [unrolled: 4-line block ×13, first 2 shown]
.long 0xE05C1000, 0x8005800A
.long 0xD3D8401C, 0x18000170
	;; [unrolled: 1-line block ×57, first 2 shown]
.long 0xBF800001
.long 0x0A38382C
	;; [unrolled: 1-line block ×58, first 2 shown]
.long 0xD0CC0034, 0x00010042
.long 0xD1000018, 0x00D230F2
.long 0xD1000019, 0x00D232F2
.long 0xD3B1401C, 0x18023918
.long 0xD0CC0034, 0x00010042
.long 0xD100001A, 0x00D234F2
.long 0xD100001B, 0x00D236F2
.long 0xD3B1401E, 0x18023D1A
.long 0xD13B001C, 0x00005B10
.long 0xD13B001D, 0x00005B11
.long 0xD13B001E, 0x00005B12
.long 0xD13B001F, 0x00005B13
.long 0xD3B24004, 0x18023914
.long 0xD3B24006, 0x18023D16
.long 0xBEC81E3E
.long 0x7E380304
.long 0x7E3A0305
.long 0x7E3C0306
.long 0x7E3E0307
.long 0x924AB424
.long 0x80104A10
.long 0x82118011
.long 0xE07C1000, 0x80041C09
.long 0xBF8C0F7D
.long 0xD0CC0034, 0x00010042
.long 0xD1000018, 0x00D230F2
.long 0xD1000019, 0x00D232F2
.long 0xD3B14024, 0x18024918
.long 0xD0CC0034, 0x00010042
.long 0xD100001A, 0x00D234F2
.long 0xD100001B, 0x00D236F2
.long 0xD3B14026, 0x18024D1A
.long 0xD13B0024, 0x00005B20
.long 0xD13B0025, 0x00005B21
.long 0xD13B0026, 0x00005B22
.long 0xD13B0027, 0x00005B23
.long 0xD3B24004, 0x18024914
.long 0xD3B24006, 0x18024D16
.long 0xBEC81E3E
.long 0x7E480304
.long 0x7E4A0305
.long 0x7E4C0306
.long 0x7E4E0307
.long 0x8E4A8224
.long 0x80104A10
.long 0x82118011
.long 0xE07C1000, 0x80042409
.long 0xBF8C0F7D
.long 0xD0CC0034, 0x00010042
.long 0xD1000018, 0x00D230F2
.long 0xD1000019, 0x00D232F2
.long 0xD3B1402C, 0x18025918
.long 0xD0CC0034, 0x00010042
.long 0xD100001A, 0x00D234F2
.long 0xD100001B, 0x00D236F2
.long 0xD3B1402E, 0x18025D1A
.long 0xD13B002C, 0x00005B28
.long 0xD13B002D, 0x00005B29
.long 0xD13B002E, 0x00005B2A
.long 0xD13B002F, 0x00005B2B
.long 0xD3B24004, 0x18025914
.long 0xD3B24006, 0x18025D16
.long 0xBEC81E3E
.long 0x7E580304
.long 0x7E5A0305
.long 0x7E5C0306
.long 0x7E5E0307
.long 0x8E4A8224
.long 0x80104A10
.long 0x82118011
.long 0xE07C1000, 0x80042C09
.long 0xBF8C0F7D
.long 0xD0CC0034, 0x00010042
.long 0xD1000018, 0x00D230F2
.long 0xD1000019, 0x00D232F2
.long 0xD3B14034, 0x18026918
.long 0xD0CC0034, 0x00010042
.long 0xD100001A, 0x00D234F2
.long 0xD100001B, 0x00D236F2
.long 0xD3B14036, 0x18026D1A
.long 0xD13B0034, 0x00005B30
.long 0xD13B0035, 0x00005B31
.long 0xD13B0036, 0x00005B32
.long 0xD13B0037, 0x00005B33
.long 0xD3B24004, 0x18026914
.long 0xD3B24006, 0x18026D16
.long 0xBEC81E3E
.long 0x7E680304
.long 0x7E6A0305
.long 0x7E6C0306
.long 0x7E6E0307
.long 0x8E4A8224
.long 0x80104A10
.long 0x82118011
.long 0xE07C1000, 0x80043409
.long 0xBF8C0F7D
.long 0xD0CC0034, 0x00010042
.long 0xD1000018, 0x00D230F2
.long 0xD1000019, 0x00D232F2
.long 0xD3B1403C, 0x18027918
.long 0xD0CC0034, 0x00010042
.long 0xD100001A, 0x00D234F2
.long 0xD100001B, 0x00D236F2
.long 0xD3B1403E, 0x18027D1A
.long 0xD13B003C, 0x00005B38
.long 0xD13B003D, 0x00005B39
.long 0xD13B003E, 0x00005B3A
.long 0xD13B003F, 0x00005B3B
.long 0xD3B24004, 0x18027914
.long 0xD3B24006, 0x18027D16
.long 0xBEC81E3E
.long 0x7E780304
.long 0x7E7A0305
.long 0x7E7C0306
.long 0x7E7E0307
.long 0x924AB424
.long 0x80104A10
.long 0x82118011
.long 0xE07C1000, 0x80043C09
.long 0xBF8C0F7D
.long 0xD0CC0034, 0x00010042
.long 0xD1000018, 0x00D230F2
.long 0xD1000019, 0x00D232F2
.long 0xD3B14044, 0x18028918
.long 0xD0CC0034, 0x00010042
.long 0xD100001A, 0x00D234F2
.long 0xD100001B, 0x00D236F2
.long 0xD3B14046, 0x18028D1A
.long 0xD13B0044, 0x00005B40
.long 0xD13B0045, 0x00005B41
.long 0xD13B0046, 0x00005B42
.long 0xD13B0047, 0x00005B43
.long 0xD3B24004, 0x18028914
.long 0xD3B24006, 0x18028D16
.long 0xBEC81E3E
.long 0x7E880304
.long 0x7E8A0305
.long 0x7E8C0306
.long 0x7E8E0307
.long 0x8E4A8224
.long 0x80104A10
.long 0x82118011
.long 0xE07C1000, 0x80044409
.long 0xBF8C0F7D
.long 0xD0CC0034, 0x00010042
.long 0xD1000018, 0x00D230F2
.long 0xD1000019, 0x00D232F2
.long 0xD3B1404C, 0x18029918
.long 0xD0CC0034, 0x00010042
.long 0xD100001A, 0x00D234F2
.long 0xD100001B, 0x00D236F2
.long 0xD3B1404E, 0x18029D1A
.long 0xD13B004C, 0x00005B48
.long 0xD13B004D, 0x00005B49
.long 0xD13B004E, 0x00005B4A
.long 0xD13B004F, 0x00005B4B
.long 0xD3B24004, 0x18029914
.long 0xD3B24006, 0x18029D16
.long 0xBEC81E3E
.long 0x7E980304
.long 0x7E9A0305
.long 0x7E9C0306
.long 0x7E9E0307
.long 0x8E4A8224
.long 0x80104A10
.long 0x82118011
.long 0xE07C1000, 0x80044C09
.long 0xBF8C0F7D
.long 0xD0CC0034, 0x00010042
.long 0xD1000018, 0x00D230F2
.long 0xD1000019, 0x00D232F2
.long 0xD3B14054, 0x1802A918
.long 0xD0CC0034, 0x00010042
.long 0xD100001A, 0x00D234F2
.long 0xD100001B, 0x00D236F2
.long 0xD3B14056, 0x1802AD1A
.long 0xD13B0054, 0x00005B50
.long 0xD13B0055, 0x00005B51
.long 0xD13B0056, 0x00005B52
.long 0xD13B0057, 0x00005B53
.long 0xD3B24004, 0x1802A914
.long 0xD3B24006, 0x1802AD16
.long 0xBEC81E3E
.long 0x7EA80304
.long 0x7EAA0305
.long 0x7EAC0306
.long 0x7EAE0307
.long 0x8E4A8224
.long 0x80104A10
.long 0x82118011
.long 0xE07C1000, 0x80045409
.long 0xBF8C0F7D
.long 0xD0CC0034, 0x00010042
.long 0xD1000018, 0x00D230F2
.long 0xD1000019, 0x00D232F2
.long 0xD3B1405C, 0x1802B918
.long 0xD0CC0034, 0x00010042
.long 0xD100001A, 0x00D234F2
.long 0xD100001B, 0x00D236F2
.long 0xD3B1405E, 0x1802BD1A
.long 0xD13B005C, 0x00005B58
.long 0xD13B005D, 0x00005B59
.long 0xD13B005E, 0x00005B5A
.long 0xD13B005F, 0x00005B5B
.long 0xD3B24004, 0x1802B914
.long 0xD3B24006, 0x1802BD16
.long 0xBEC81E3E
.long 0x7EB80304
.long 0x7EBA0305
.long 0x7EBC0306
.long 0x7EBE0307
.long 0x924AB424
.long 0x80104A10
.long 0x82118011
.long 0xE07C1000, 0x80045C09
.long 0xBF8C0F7D
.long 0xD0CC0034, 0x00010042
.long 0xD1000018, 0x00D230F2
.long 0xD1000019, 0x00D232F2
.long 0xD3B14064, 0x1802C918
.long 0xD0CC0034, 0x00010042
.long 0xD100001A, 0x00D234F2
.long 0xD100001B, 0x00D236F2
.long 0xD3B14066, 0x1802CD1A
.long 0xD13B0064, 0x00005B60
.long 0xD13B0065, 0x00005B61
.long 0xD13B0066, 0x00005B62
.long 0xD13B0067, 0x00005B63
.long 0xD3B24004, 0x1802C914
.long 0xD3B24006, 0x1802CD16
.long 0xBEC81E3E
.long 0x7EC80304
.long 0x7ECA0305
.long 0x7ECC0306
.long 0x7ECE0307
.long 0x8E4A8224
.long 0x80104A10
.long 0x82118011
.long 0xE07C1000, 0x80046409
.long 0xBF8C0F7D
.long 0xD0CC0034, 0x00010042
.long 0xD1000018, 0x00D230F2
.long 0xD1000019, 0x00D232F2
.long 0xD3B1406C, 0x1802D918
.long 0xD0CC0034, 0x00010042
.long 0xD100001A, 0x00D234F2
.long 0xD100001B, 0x00D236F2
.long 0xD3B1406E, 0x1802DD1A
.long 0xD13B006C, 0x00005B68
.long 0xD13B006D, 0x00005B69
.long 0xD13B006E, 0x00005B6A
.long 0xD13B006F, 0x00005B6B
.long 0xD3B24004, 0x1802D914
.long 0xD3B24006, 0x1802DD16
.long 0xBEC81E3E
.long 0x7ED80304
.long 0x7EDA0305
.long 0x7EDC0306
.long 0x7EDE0307
.long 0x8E4A8224
.long 0x80104A10
.long 0x82118011
.long 0xE07C1000, 0x80046C09
.long 0xBF8C0F7D
.long 0xD0CC0034, 0x00010042
.long 0xD1000018, 0x00D230F2
.long 0xD1000019, 0x00D232F2
.long 0xD3B14074, 0x1802E918
.long 0xD0CC0034, 0x00010042
.long 0xD100001A, 0x00D234F2
.long 0xD100001B, 0x00D236F2
.long 0xD3B14076, 0x1802ED1A
.long 0xD13B0074, 0x00005B70
.long 0xD13B0075, 0x00005B71
.long 0xD13B0076, 0x00005B72
.long 0xD13B0077, 0x00005B73
.long 0xD3B24004, 0x1802E914
.long 0xD3B24006, 0x1802ED16
.long 0xBEC81E3E
.long 0x7EE80304
.long 0x7EEA0305
.long 0x7EEC0306
.long 0x7EEE0307
.long 0x8E4A8224
.long 0x80104A10
.long 0x82118011
.long 0xE07C1000, 0x80047409
.long 0xBF8C0F7D
.long 0xD0CC0034, 0x00010042
.long 0xD1000018, 0x00D230F2
.long 0xD1000019, 0x00D232F2
.long 0xD3B1407C, 0x1802F918
.long 0xD0CC0034, 0x00010042
.long 0xD100001A, 0x00D234F2
.long 0xD100001B, 0x00D236F2
.long 0xD3B1407E, 0x1802FD1A
.long 0xD13B007C, 0x00005B78
.long 0xD13B007D, 0x00005B79
.long 0xD13B007E, 0x00005B7A
.long 0xD13B007F, 0x00005B7B
.long 0xD3B24004, 0x1802F914
.long 0xD3B24006, 0x1802FD16
.long 0xBEC81E3E
.long 0x7EF80304
.long 0x7EFA0305
.long 0x7EFC0306
.long 0x7EFE0307
.long 0x924AB424
.long 0x80104A10
.long 0x82118011
.long 0xE07C1000, 0x80047C09
.long 0xBF8C0F7D
.long 0xD0CC0034, 0x00010042
.long 0xD1000018, 0x00D230F2
.long 0xD1000019, 0x00D232F2
.long 0xD3B14084, 0x18030918
.long 0xD0CC0034, 0x00010042
.long 0xD100001A, 0x00D234F2
.long 0xD100001B, 0x00D236F2
.long 0xD3B14086, 0x18030D1A
.long 0xD13B0084, 0x00005B80
.long 0xD13B0085, 0x00005B81
.long 0xD13B0086, 0x00005B82
.long 0xD13B0087, 0x00005B83
.long 0xD3B24004, 0x18030914
.long 0xD3B24006, 0x18030D16
.long 0xBEC81E3E
.long 0x7F080304
.long 0x7F0A0305
.long 0x7F0C0306
.long 0x7F0E0307
.long 0x8E4A8224
.long 0x80104A10
.long 0x82118011
.long 0xE07C1000, 0x80048409
.long 0xBF800000
.long 0x8E4A8226
.long 0x80144A14
	;; [unrolled: 1-line block ×3, first 2 shown]
.long 0xE05C1000, 0x8005100A
.long 0x924A02FF, 0x00000100
	;; [unrolled: 1-line block ×3, first 2 shown]
.long 0x24161682
.long 0xD9FE0000, 0x1400000B
.long 0xE05C1000, 0x8010180C
.long 0x8E4A8226
.long 0x80144A14
.long 0x82158015
.long 0xE05C1000, 0x8005200A
.long 0x924AB426
.long 0x80144A14
.long 0x82158015
	;; [unrolled: 4-line block ×13, first 2 shown]
.long 0xE05C1000, 0x8005800A
.long 0xD3D8401C, 0x180001A2
	;; [unrolled: 1-line block ×57, first 2 shown]
.long 0xBF800001
.long 0x0A38382C
	;; [unrolled: 1-line block ×58, first 2 shown]
.long 0xD0CC0034, 0x00010042
.long 0xD1000018, 0x00D230F2
.long 0xD1000019, 0x00D232F2
.long 0xD3B1401C, 0x18023918
.long 0xD0CC0034, 0x00010042
.long 0xD100001A, 0x00D234F2
.long 0xD100001B, 0x00D236F2
.long 0xD3B1401E, 0x18023D1A
.long 0xD13B001C, 0x00005B10
.long 0xD13B001D, 0x00005B11
.long 0xD13B001E, 0x00005B12
.long 0xD13B001F, 0x00005B13
.long 0xD3B24004, 0x18023914
.long 0xD3B24006, 0x18023D16
.long 0xBEC81E3E
.long 0x7E380304
.long 0x7E3A0305
.long 0x7E3C0306
.long 0x7E3E0307
.long 0x8E4A8224
.long 0x80104A10
.long 0x82118011
.long 0xE07C1000, 0x80041C09
.long 0xBF8C0F7D
.long 0xD0CC0034, 0x00010042
.long 0xD1000018, 0x00D230F2
.long 0xD1000019, 0x00D232F2
.long 0xD3B14024, 0x18024918
.long 0xD0CC0034, 0x00010042
.long 0xD100001A, 0x00D234F2
.long 0xD100001B, 0x00D236F2
.long 0xD3B14026, 0x18024D1A
.long 0xD13B0024, 0x00005B20
.long 0xD13B0025, 0x00005B21
.long 0xD13B0026, 0x00005B22
.long 0xD13B0027, 0x00005B23
.long 0xD3B24004, 0x18024914
.long 0xD3B24006, 0x18024D16
.long 0xBEC81E3E
.long 0x7E480304
.long 0x7E4A0305
.long 0x7E4C0306
.long 0x7E4E0307
.long 0x8E4A8224
.long 0x80104A10
.long 0x82118011
.long 0xE07C1000, 0x80042409
.long 0xBF8C0F7D
	;; [unrolled: 24-line block ×14, first 2 shown]
.long 0x924AB426
.long 0x80144A14
.long 0x82158015
.long 0xE05C1000, 0x8005100A
.long 0x924A02FF, 0x00000100
	;; [unrolled: 1-line block ×3, first 2 shown]
.long 0x24161682
.long 0xD9FE0000, 0x1400000B
.long 0xE05C1000, 0x8010180C
.long 0x8E4A8226
.long 0x80144A14
.long 0x82158015
.long 0xE05C1000, 0x8005200A
.long 0x8E4A8226
.long 0x80144A14
.long 0x82158015
	;; [unrolled: 4-line block ×7, first 2 shown]
.long 0xE05C1000, 0x8005500A
.long 0xD3D8401C, 0x180001E0
	;; [unrolled: 1-line block ×33, first 2 shown]
.long 0xBF800001
.long 0x0A38382C
	;; [unrolled: 1-line block ×34, first 2 shown]
.long 0xD0CC0034, 0x00010042
.long 0xD1000018, 0x00D230F2
.long 0xD1000019, 0x00D232F2
.long 0xD3B1401C, 0x18023918
.long 0xD0CC0034, 0x00010042
.long 0xD100001A, 0x00D234F2
.long 0xD100001B, 0x00D236F2
.long 0xD3B1401E, 0x18023D1A
.long 0xD13B001C, 0x00005B10
.long 0xD13B001D, 0x00005B11
.long 0xD13B001E, 0x00005B12
.long 0xD13B001F, 0x00005B13
.long 0xD3B24004, 0x18023914
.long 0xD3B24006, 0x18023D16
.long 0xBEC81E3E
.long 0x7E380304
.long 0x7E3A0305
.long 0x7E3C0306
.long 0x7E3E0307
.long 0x924AB424
.long 0x80104A10
.long 0x82118011
.long 0xE07C1000, 0x80041C09
.long 0xBF8C0F77
.long 0xD0CC0034, 0x00010042
.long 0xD1000018, 0x00D230F2
.long 0xD1000019, 0x00D232F2
.long 0xD3B14024, 0x18024918
.long 0xD0CC0034, 0x00010042
.long 0xD100001A, 0x00D234F2
.long 0xD100001B, 0x00D236F2
.long 0xD3B14026, 0x18024D1A
.long 0xD13B0024, 0x00005B20
.long 0xD13B0025, 0x00005B21
.long 0xD13B0026, 0x00005B22
.long 0xD13B0027, 0x00005B23
.long 0xD3B24004, 0x18024914
.long 0xD3B24006, 0x18024D16
.long 0xBEC81E3E
.long 0x7E480304
.long 0x7E4A0305
.long 0x7E4C0306
.long 0x7E4E0307
.long 0x8E4A8224
.long 0x80104A10
.long 0x82118011
.long 0xE07C1000, 0x80042409
.long 0xBF8C0F77
.long 0xD0CC0034, 0x00010042
.long 0xD1000018, 0x00D230F2
.long 0xD1000019, 0x00D232F2
.long 0xD3B1402C, 0x18025918
.long 0xD0CC0034, 0x00010042
.long 0xD100001A, 0x00D234F2
.long 0xD100001B, 0x00D236F2
.long 0xD3B1402E, 0x18025D1A
.long 0xD13B002C, 0x00005B28
.long 0xD13B002D, 0x00005B29
.long 0xD13B002E, 0x00005B2A
.long 0xD13B002F, 0x00005B2B
.long 0xD3B24004, 0x18025914
.long 0xD3B24006, 0x18025D16
.long 0xBEC81E3E
.long 0x7E580304
.long 0x7E5A0305
.long 0x7E5C0306
.long 0x7E5E0307
.long 0x8E4A8224
.long 0x80104A10
.long 0x82118011
.long 0xE07C1000, 0x80042C09
.long 0xBF8C0F77
.long 0xD0CC0034, 0x00010042
.long 0xD1000018, 0x00D230F2
.long 0xD1000019, 0x00D232F2
.long 0xD3B14034, 0x18026918
.long 0xD0CC0034, 0x00010042
.long 0xD100001A, 0x00D234F2
.long 0xD100001B, 0x00D236F2
.long 0xD3B14036, 0x18026D1A
.long 0xD13B0034, 0x00005B30
.long 0xD13B0035, 0x00005B31
.long 0xD13B0036, 0x00005B32
.long 0xD13B0037, 0x00005B33
.long 0xD3B24004, 0x18026914
.long 0xD3B24006, 0x18026D16
.long 0xBEC81E3E
.long 0x7E680304
.long 0x7E6A0305
.long 0x7E6C0306
.long 0x7E6E0307
.long 0x8E4A8224
.long 0x80104A10
.long 0x82118011
.long 0xE07C1000, 0x80043409
.long 0xBF8C0F77
.long 0xD0CC0034, 0x00010042
.long 0xD1000018, 0x00D230F2
.long 0xD1000019, 0x00D232F2
.long 0xD3B1403C, 0x18027918
.long 0xD0CC0034, 0x00010042
.long 0xD100001A, 0x00D234F2
.long 0xD100001B, 0x00D236F2
.long 0xD3B1403E, 0x18027D1A
.long 0xD13B003C, 0x00005B38
.long 0xD13B003D, 0x00005B39
.long 0xD13B003E, 0x00005B3A
.long 0xD13B003F, 0x00005B3B
.long 0xD3B24004, 0x18027914
.long 0xD3B24006, 0x18027D16
.long 0xBEC81E3E
.long 0x7E780304
.long 0x7E7A0305
.long 0x7E7C0306
.long 0x7E7E0307
.long 0x924AB424
.long 0x80104A10
.long 0x82118011
.long 0xE07C1000, 0x80043C09
.long 0xBF8C0F77
.long 0xD0CC0034, 0x00010042
.long 0xD1000018, 0x00D230F2
.long 0xD1000019, 0x00D232F2
.long 0xD3B14044, 0x18028918
.long 0xD0CC0034, 0x00010042
.long 0xD100001A, 0x00D234F2
.long 0xD100001B, 0x00D236F2
.long 0xD3B14046, 0x18028D1A
.long 0xD13B0044, 0x00005B40
.long 0xD13B0045, 0x00005B41
.long 0xD13B0046, 0x00005B42
.long 0xD13B0047, 0x00005B43
.long 0xD3B24004, 0x18028914
.long 0xD3B24006, 0x18028D16
.long 0xBEC81E3E
.long 0x7E880304
.long 0x7E8A0305
.long 0x7E8C0306
.long 0x7E8E0307
.long 0x8E4A8224
.long 0x80104A10
.long 0x82118011
.long 0xE07C1000, 0x80044409
.long 0xBF8C0F77
.long 0xD0CC0034, 0x00010042
.long 0xD1000018, 0x00D230F2
.long 0xD1000019, 0x00D232F2
.long 0xD3B1404C, 0x18029918
.long 0xD0CC0034, 0x00010042
.long 0xD100001A, 0x00D234F2
.long 0xD100001B, 0x00D236F2
.long 0xD3B1404E, 0x18029D1A
.long 0xD13B004C, 0x00005B48
.long 0xD13B004D, 0x00005B49
.long 0xD13B004E, 0x00005B4A
.long 0xD13B004F, 0x00005B4B
.long 0xD3B24004, 0x18029914
.long 0xD3B24006, 0x18029D16
.long 0xBEC81E3E
.long 0x7E980304
.long 0x7E9A0305
.long 0x7E9C0306
.long 0x7E9E0307
.long 0x8E4A8224
.long 0x80104A10
.long 0x82118011
.long 0xE07C1000, 0x80044C09
.long 0xBF8C0F77
.long 0xD0CC0034, 0x00010042
.long 0xD1000018, 0x00D230F2
.long 0xD1000019, 0x00D232F2
.long 0xD3B14054, 0x1802A918
.long 0xD0CC0034, 0x00010042
.long 0xD100001A, 0x00D234F2
.long 0xD100001B, 0x00D236F2
.long 0xD3B14056, 0x1802AD1A
.long 0xD13B0054, 0x00005B50
.long 0xD13B0055, 0x00005B51
.long 0xD13B0056, 0x00005B52
.long 0xD13B0057, 0x00005B53
.long 0xD3B24004, 0x1802A914
.long 0xD3B24006, 0x1802AD16
.long 0xBEC81E3E
.long 0x7EA80304
.long 0x7EAA0305
.long 0x7EAC0306
.long 0x7EAE0307
.long 0x8E4A8224
.long 0x80104A10
.long 0x82118011
.long 0xE07C1000, 0x80045409
.long 0xBF800000
.long 0xBF822BFE
.long 0xB43C0001
	;; [unrolled: 1-line block ×18, first 2 shown]
.long 0x810584FF, 0x0000AE90
.long 0x803E053E
.long 0x823F803F
.long 0xBF820030
.long 0xBEBE1C00
.long 0x810584FF, 0x0000AE7C
.long 0x803E053E
.long 0x823F803F
.long 0xBF82002A
.long 0xBEBE1C00
	;; [unrolled: 5-line block ×8, first 2 shown]
.long 0x810584FF, 0x0000AEA8
.long 0x803E053E
.long 0x823F803F
	;; [unrolled: 1-line block ×3, first 2 shown]
.long 0x7EC202FF, 0x80000000
.long 0xD0C9004A, 0x00003100
	;; [unrolled: 1-line block ×3, first 2 shown]
.long 0x86CE4E4A
.long 0xD1FE0009, 0x020A0102
.long 0xD1000009, 0x013A1361
	;; [unrolled: 1-line block ×5, first 2 shown]
.long 0x24141482
.long 0xD100000A, 0x013A1561
.long 0xBF8CC07F
.long 0xBF8A0000
.long 0xD86C0000, 0x0D00000A
.long 0x24160082
.long 0xE0501000, 0x80100E0B
.long 0xD1FE0009, 0x020A0103
.long 0xD1000009, 0x013A1361
.long 0xD1196A04, 0x00010300
.long 0xD0C9004A, 0x00003104
.long 0xD0C9004E, 0x00003301
.long 0x86CE4E4A
.long 0xD1FE0010, 0x020A0902
.long 0xD1000010, 0x013A2161
.long 0xE0501000, 0x80051310
.long 0x924A02FF, 0x00000100
.long 0xD1350011, 0x00009504
.long 0x24222282
.long 0xD1000011, 0x013A2361
.long 0xD86C0000, 0x14000011
.long 0x24240882
.long 0xE0501000, 0x80101512
.long 0xD1FE0010, 0x020A0903
.long 0xD1000010, 0x013A2161
.long 0xD1196A04, 0x00010500
.long 0xD0C9004A, 0x00003104
.long 0xD0C9004E, 0x00003301
.long 0x86CE4E4A
.long 0xD1FE0017, 0x020A0902
.long 0xD1000017, 0x013A2F61
.long 0xE0501000, 0x80051A17
.long 0x924A02FF, 0x00000100
.long 0xD1350018, 0x00009504
.long 0x24303082
.long 0xD1000018, 0x013A3161
	;; [unrolled: 16-line block ×3, first 2 shown]
.long 0xD86C0000, 0x2200001F
.long 0x24400882
.long 0xE0501000, 0x80102320
.long 0xD1FE001E, 0x020A0903
	;; [unrolled: 1-line block ×8, first 2 shown]
.long 0x86CE4E4A
.long 0xD1FE0025, 0x020A0102
.long 0xD1000025, 0x013A4B61
.long 0xE0501000, 0x80052825
.long 0x924A02FF, 0x00000100
.long 0xD1350026, 0x00009500
.long 0x244C4C82
.long 0xD1000026, 0x013A4D61
.long 0x244E0082
.long 0xD1FE0025, 0x020A0103
.long 0xD1000025, 0x013A4B61
.long 0xD1196A04, 0x00010300
.long 0xD0C9004A, 0x00003104
.long 0xD0C9004E, 0x00003301
.long 0x86CE4E4A
.long 0xD1FE002A, 0x020A0902
.long 0xD100002A, 0x013A5561
.long 0xE0501000, 0x80052D2A
.long 0x924A02FF, 0x00000100
.long 0xD135002B, 0x00009504
.long 0x24565682
.long 0xD100002B, 0x013A5761
.long 0x24580882
.long 0xD1FE002A, 0x020A0903
.long 0xD100002A, 0x013A5561
.long 0xD1196A04, 0x00010500
.long 0xD0C9004A, 0x00003104
.long 0xD0C9004E, 0x00003301
.long 0x86CE4E4A
.long 0xD1FE002F, 0x020A0902
.long 0xD100002F, 0x013A5F61
.long 0xE0501000, 0x8005322F
.long 0x924A02FF, 0x00000100
.long 0xD1350030, 0x00009504
.long 0x24606082
.long 0xD1000030, 0x013A6161
.long 0x24620882
.long 0xD1FE002F, 0x020A0903
.long 0xD100002F, 0x013A5F61
.long 0xD1196A04, 0x00010700
.long 0xD0C9004A, 0x00003104
.long 0xD0C9004E, 0x00003301
.long 0x86CE4E4A
.long 0xD1FE0034, 0x020A0902
.long 0xD1000034, 0x013A6961
.long 0xE0501000, 0x80053734
.long 0x924A02FF, 0x00000100
.long 0xD1350035, 0x00009504
.long 0x246A6A82
.long 0xD1000035, 0x013A6B61
.long 0x246C0882
.long 0xD1FE0034, 0x020A0903
.long 0xD1000034, 0x013A6961
.long 0xD1196A01, 0x00010301
.long 0xD1340002, 0x00004D02
.long 0xD1340003, 0x00004903
.long 0xD0C9004A, 0x00003100
.long 0xD0C9004E, 0x00003301
.long 0x86CE4E4A
.long 0xD1FE0039, 0x020A0102
.long 0xD1000039, 0x013A7361
.long 0xE0501000, 0x80053C39
.long 0x924A02FF, 0x00000100
.long 0xD135003A, 0x00009500
.long 0x24747482
.long 0xD100003A, 0x013A7561
.long 0x24760082
.long 0xD1FE0039, 0x020A0103
.long 0xD1000039, 0x013A7361
.long 0xD1196A04, 0x00010300
.long 0xD0C9004A, 0x00003104
.long 0xD0C9004E, 0x00003301
.long 0x86CE4E4A
.long 0xD1FE003E, 0x020A0902
.long 0xD100003E, 0x013A7D61
.long 0xE0501000, 0x8005413E
.long 0x924A02FF, 0x00000100
.long 0xD135003F, 0x00009504
.long 0x247E7E82
.long 0xD100003F, 0x013A7F61
.long 0x24800882
.long 0xD1FE003E, 0x020A0903
.long 0xD100003E, 0x013A7D61
.long 0xD1196A04, 0x00010500
.long 0xD0C9004A, 0x00003104
.long 0xD0C9004E, 0x00003301
.long 0x86CE4E4A
.long 0xD1FE0043, 0x020A0902
.long 0xD1000043, 0x013A8761
.long 0xE0501000, 0x80054643
.long 0x924A02FF, 0x00000100
.long 0xD1350044, 0x00009504
.long 0x24888882
.long 0xD1000044, 0x013A8961
.long 0x248A0882
.long 0xD1FE0043, 0x020A0903
.long 0xD1000043, 0x013A8761
.long 0xD1196A04, 0x00010700
.long 0xD0C9004A, 0x00003104
.long 0xD0C9004E, 0x00003301
.long 0x86CE4E4A
.long 0xD1FE0048, 0x020A0902
.long 0xD1000048, 0x013A9161
.long 0xE0501000, 0x80054B48
.long 0x924A02FF, 0x00000100
.long 0xD1350049, 0x00009504
.long 0x24929282
.long 0xD1000049, 0x013A9361
.long 0x24940882
.long 0xD1FE0048, 0x020A0903
.long 0xD1000048, 0x013A9161
.long 0xD1196A01, 0x00010301
.long 0xD1340002, 0x00004D02
.long 0xD1340003, 0x00004903
.long 0xD0C9004A, 0x00003100
.long 0xD0C9004E, 0x00003301
	;; [unrolled: 58-line block ×3, first 2 shown]
.long 0xD3D8402E, 0x18000105
.long 0xD3D84033, 0x18000109
	;; [unrolled: 1-line block ×11, first 2 shown]
.long 0xBF800001
.long 0x0A1E1E2C
.long 0x0A2C2C2C
.long 0x0A3A3A2C
.long 0x0A48482C
.long 0x0A52522C
.long 0x0A5C5C2C
.long 0x0A66662C
.long 0x0A70702C
.long 0x0A7A7A2C
.long 0x0A84842C
.long 0x0A8E8E2C
.long 0x0A98982C
.long 0x0AA2A22C
.long 0x0AACAC2C
.long 0x0AB6B62C
.long 0x0AC0C02C
.long 0xBF8C0000
.long 0xD0CC0034, 0x00010042
.long 0xD100000E, 0x00D21CF2
.long 0x0A1E1F0E
.long 0xD13B000F, 0x00005B0C
.long 0x02081F0D
.long 0xBEC81E3E
.long 0x7E1E0304
.long 0xE0701000, 0x80040F09
.long 0xD0CC0034, 0x00010042
.long 0xD1000015, 0x00D22AF2
.long 0x0A2C2D15
.long 0xD13B0016, 0x00005B13
.long 0x02082D14
.long 0xBEC81E3E
.long 0x7E2C0304
.long 0xE0701000, 0x80041610
	;; [unrolled: 8-line block ×16, first 2 shown]
.long 0xBF800000
.long 0x7EC202FF, 0x80000000
.long 0xD1196A01, 0x00011B01
.long 0x924A8D26
.long 0xD1340002, 0x00009502
.long 0x924A8D24
.long 0xD1340003, 0x00009503
.long 0xD0C9004A, 0x00003100
.long 0xD0C9004E, 0x00003301
.long 0x86CE4E4A
.long 0xD1FE0009, 0x020A0102
.long 0xD1000009, 0x013A1361
.long 0xE0501000, 0x80050C09
.long 0x924A02FF, 0x00000100
.long 0xD135000A, 0x00009500
.long 0x24141482
.long 0xD100000A, 0x013A1561
.long 0xD86C0000, 0x0D00000A
.long 0x24160082
.long 0xE0501000, 0x80100E0B
.long 0xD1FE0009, 0x020A0103
.long 0xD1000009, 0x013A1361
.long 0xD1196A04, 0x00010300
.long 0xD0C9004A, 0x00003104
.long 0xD0C9004E, 0x00003301
.long 0x86CE4E4A
.long 0xD1FE0010, 0x020A0902
.long 0xD1000010, 0x013A2161
.long 0xE0501000, 0x80051310
.long 0x924A02FF, 0x00000100
.long 0xD1350011, 0x00009504
.long 0x24222282
.long 0xD1000011, 0x013A2361
.long 0xD86C0000, 0x14000011
.long 0x24240882
.long 0xE0501000, 0x80101512
.long 0xD1FE0010, 0x020A0903
.long 0xD1000010, 0x013A2161
	;; [unrolled: 16-line block ×4, first 2 shown]
.long 0xD1196A01, 0x00010301
.long 0xD1340002, 0x00004D02
.long 0xD1340003, 0x00004903
.long 0xD0C9004A, 0x00003100
.long 0xD0C9004E, 0x00003301
.long 0x86CE4E4A
.long 0xD1FE0025, 0x020A0102
.long 0xD1000025, 0x013A4B61
.long 0xE0501000, 0x80052825
.long 0x924A02FF, 0x00000100
.long 0xD1350026, 0x00009500
.long 0x244C4C82
.long 0xD1000026, 0x013A4D61
.long 0x244E0082
.long 0xD1FE0025, 0x020A0103
.long 0xD1000025, 0x013A4B61
.long 0xD1196A04, 0x00010300
.long 0xD0C9004A, 0x00003104
.long 0xD0C9004E, 0x00003301
.long 0x86CE4E4A
.long 0xD1FE002A, 0x020A0902
.long 0xD100002A, 0x013A5561
.long 0xE0501000, 0x80052D2A
.long 0x924A02FF, 0x00000100
.long 0xD135002B, 0x00009504
.long 0x24565682
.long 0xD100002B, 0x013A5761
.long 0x24580882
.long 0xD1FE002A, 0x020A0903
.long 0xD100002A, 0x013A5561
.long 0xD1196A04, 0x00010500
.long 0xD0C9004A, 0x00003104
.long 0xD0C9004E, 0x00003301
.long 0x86CE4E4A
.long 0xD1FE002F, 0x020A0902
.long 0xD100002F, 0x013A5F61
.long 0xE0501000, 0x8005322F
.long 0x924A02FF, 0x00000100
.long 0xD1350030, 0x00009504
.long 0x24606082
.long 0xD1000030, 0x013A6161
.long 0x24620882
.long 0xD1FE002F, 0x020A0903
.long 0xD100002F, 0x013A5F61
.long 0xD1196A04, 0x00010700
.long 0xD0C9004A, 0x00003104
.long 0xD0C9004E, 0x00003301
.long 0x86CE4E4A
.long 0xD1FE0034, 0x020A0902
.long 0xD1000034, 0x013A6961
.long 0xE0501000, 0x80053734
.long 0x924A02FF, 0x00000100
.long 0xD1350035, 0x00009504
.long 0x246A6A82
.long 0xD1000035, 0x013A6B61
.long 0x246C0882
.long 0xD1FE0034, 0x020A0903
.long 0xD1000034, 0x013A6961
.long 0xD1196A01, 0x00010301
.long 0xD1340002, 0x00004D02
.long 0xD1340003, 0x00004903
.long 0xD0C9004A, 0x00003100
.long 0xD0C9004E, 0x00003301
.long 0x86CE4E4A
.long 0xD1FE0039, 0x020A0102
.long 0xD1000039, 0x013A7361
.long 0xE0501000, 0x80053C39
.long 0x924A02FF, 0x00000100
.long 0xD135003A, 0x00009500
.long 0x24747482
.long 0xD100003A, 0x013A7561
.long 0x24760082
.long 0xD1FE0039, 0x020A0103
.long 0xD1000039, 0x013A7361
.long 0xD1196A04, 0x00010300
.long 0xD0C9004A, 0x00003104
.long 0xD0C9004E, 0x00003301
.long 0x86CE4E4A
.long 0xD1FE003E, 0x020A0902
.long 0xD100003E, 0x013A7D61
.long 0xE0501000, 0x8005413E
.long 0x924A02FF, 0x00000100
.long 0xD135003F, 0x00009504
.long 0x247E7E82
.long 0xD100003F, 0x013A7F61
.long 0x24800882
.long 0xD1FE003E, 0x020A0903
.long 0xD100003E, 0x013A7D61
.long 0xD1196A04, 0x00010500
.long 0xD0C9004A, 0x00003104
.long 0xD0C9004E, 0x00003301
.long 0x86CE4E4A
.long 0xD1FE0043, 0x020A0902
.long 0xD1000043, 0x013A8761
.long 0xE0501000, 0x80054643
.long 0x924A02FF, 0x00000100
.long 0xD1350044, 0x00009504
.long 0x24888882
.long 0xD1000044, 0x013A8961
.long 0x248A0882
.long 0xD1FE0043, 0x020A0903
.long 0xD1000043, 0x013A8761
.long 0xD1196A04, 0x00010700
.long 0xD0C9004A, 0x00003104
.long 0xD0C9004E, 0x00003301
.long 0x86CE4E4A
.long 0xD1FE0048, 0x020A0902
.long 0xD1000048, 0x013A9161
.long 0xE0501000, 0x80054B48
.long 0x924A02FF, 0x00000100
.long 0xD1350049, 0x00009504
.long 0x24929282
.long 0xD1000049, 0x013A9361
.long 0x24940882
.long 0xD1FE0048, 0x020A0903
.long 0xD1000048, 0x013A9161
	;; [unrolled: 58-line block ×3, first 2 shown]
.long 0xD3D8400F, 0x18000110
.long 0xD3D84016, 0x18000114
	;; [unrolled: 1-line block ×16, first 2 shown]
.long 0xBF800001
.long 0x0A1E1E2C
	;; [unrolled: 1-line block ×18, first 2 shown]
.long 0xD0CC0034, 0x00010042
.long 0xD100000E, 0x00D21CF2
.long 0x0A1E1F0E
.long 0xD13B000F, 0x00005B0C
.long 0x02081F0D
.long 0xBEC81E3E
.long 0x7E1E0304
.long 0xE0701000, 0x80040F09
.long 0xD0CC0034, 0x00010042
.long 0xD1000015, 0x00D22AF2
.long 0x0A2C2D15
.long 0xD13B0016, 0x00005B13
.long 0x02082D14
.long 0xBEC81E3E
.long 0x7E2C0304
.long 0xE0701000, 0x80041610
	;; [unrolled: 8-line block ×16, first 2 shown]
.long 0xBF800000
.long 0x7EC202FF, 0x80000000
.long 0xD1196A01, 0x00011B01
.long 0x924A8D26
.long 0xD1340002, 0x00009502
.long 0x924A8D24
.long 0xD1340003, 0x00009503
.long 0xD0C9004A, 0x00003100
.long 0xD0C9004E, 0x00003301
.long 0x86CE4E4A
.long 0xD1FE0009, 0x020A0102
.long 0xD1000009, 0x013A1361
.long 0xE0501000, 0x80050C09
.long 0x924A02FF, 0x00000100
.long 0xD135000A, 0x00009500
.long 0x24141482
.long 0xD100000A, 0x013A1561
.long 0xD86C0000, 0x0D00000A
.long 0x24160082
.long 0xE0501000, 0x80100E0B
.long 0xD1FE0009, 0x020A0103
.long 0xD1000009, 0x013A1361
.long 0xD1196A04, 0x00010300
.long 0xD0C9004A, 0x00003104
.long 0xD0C9004E, 0x00003301
.long 0x86CE4E4A
.long 0xD1FE0010, 0x020A0902
.long 0xD1000010, 0x013A2161
.long 0xE0501000, 0x80051310
.long 0x924A02FF, 0x00000100
.long 0xD1350011, 0x00009504
.long 0x24222282
.long 0xD1000011, 0x013A2361
.long 0xD86C0000, 0x14000011
.long 0x24240882
.long 0xE0501000, 0x80101512
.long 0xD1FE0010, 0x020A0903
.long 0xD1000010, 0x013A2161
	;; [unrolled: 16-line block ×4, first 2 shown]
.long 0xD1196A01, 0x00010301
.long 0xD1340002, 0x00004D02
.long 0xD1340003, 0x00004903
.long 0xD0C9004A, 0x00003100
.long 0xD0C9004E, 0x00003301
.long 0x86CE4E4A
.long 0xD1FE0025, 0x020A0102
.long 0xD1000025, 0x013A4B61
.long 0xE0501000, 0x80052825
.long 0x924A02FF, 0x00000100
.long 0xD1350026, 0x00009500
.long 0x244C4C82
.long 0xD1000026, 0x013A4D61
.long 0x244E0082
.long 0xD1FE0025, 0x020A0103
.long 0xD1000025, 0x013A4B61
.long 0xD1196A04, 0x00010300
.long 0xD0C9004A, 0x00003104
.long 0xD0C9004E, 0x00003301
.long 0x86CE4E4A
.long 0xD1FE002A, 0x020A0902
.long 0xD100002A, 0x013A5561
.long 0xE0501000, 0x80052D2A
.long 0x924A02FF, 0x00000100
.long 0xD135002B, 0x00009504
.long 0x24565682
.long 0xD100002B, 0x013A5761
.long 0x24580882
.long 0xD1FE002A, 0x020A0903
.long 0xD100002A, 0x013A5561
.long 0xD1196A04, 0x00010500
.long 0xD0C9004A, 0x00003104
.long 0xD0C9004E, 0x00003301
.long 0x86CE4E4A
.long 0xD1FE002F, 0x020A0902
.long 0xD100002F, 0x013A5F61
.long 0xE0501000, 0x8005322F
.long 0x924A02FF, 0x00000100
.long 0xD1350030, 0x00009504
.long 0x24606082
.long 0xD1000030, 0x013A6161
.long 0x24620882
.long 0xD1FE002F, 0x020A0903
.long 0xD100002F, 0x013A5F61
.long 0xD1196A04, 0x00010700
.long 0xD0C9004A, 0x00003104
.long 0xD0C9004E, 0x00003301
.long 0x86CE4E4A
.long 0xD1FE0034, 0x020A0902
.long 0xD1000034, 0x013A6961
.long 0xE0501000, 0x80053734
.long 0x924A02FF, 0x00000100
.long 0xD1350035, 0x00009504
.long 0x246A6A82
.long 0xD1000035, 0x013A6B61
.long 0x246C0882
.long 0xD1FE0034, 0x020A0903
.long 0xD1000034, 0x013A6961
.long 0xD1196A01, 0x00010301
.long 0xD1340002, 0x00004D02
.long 0xD1340003, 0x00004903
.long 0xD0C9004A, 0x00003100
.long 0xD0C9004E, 0x00003301
.long 0x86CE4E4A
.long 0xD1FE0039, 0x020A0102
.long 0xD1000039, 0x013A7361
.long 0xE0501000, 0x80053C39
.long 0x924A02FF, 0x00000100
.long 0xD135003A, 0x00009500
.long 0x24747482
.long 0xD100003A, 0x013A7561
.long 0x24760082
.long 0xD1FE0039, 0x020A0103
.long 0xD1000039, 0x013A7361
.long 0xD1196A04, 0x00010300
.long 0xD0C9004A, 0x00003104
.long 0xD0C9004E, 0x00003301
.long 0x86CE4E4A
.long 0xD1FE003E, 0x020A0902
.long 0xD100003E, 0x013A7D61
.long 0xE0501000, 0x8005413E
.long 0x924A02FF, 0x00000100
.long 0xD135003F, 0x00009504
.long 0x247E7E82
.long 0xD100003F, 0x013A7F61
.long 0x24800882
.long 0xD1FE003E, 0x020A0903
.long 0xD100003E, 0x013A7D61
.long 0xD1196A04, 0x00010500
.long 0xD0C9004A, 0x00003104
.long 0xD0C9004E, 0x00003301
.long 0x86CE4E4A
.long 0xD1FE0043, 0x020A0902
.long 0xD1000043, 0x013A8761
.long 0xE0501000, 0x80054643
.long 0x924A02FF, 0x00000100
.long 0xD1350044, 0x00009504
.long 0x24888882
.long 0xD1000044, 0x013A8961
.long 0x248A0882
.long 0xD1FE0043, 0x020A0903
.long 0xD1000043, 0x013A8761
.long 0xD1196A04, 0x00010700
.long 0xD0C9004A, 0x00003104
.long 0xD0C9004E, 0x00003301
.long 0x86CE4E4A
.long 0xD1FE0048, 0x020A0902
.long 0xD1000048, 0x013A9161
.long 0xE0501000, 0x80054B48
.long 0x924A02FF, 0x00000100
.long 0xD1350049, 0x00009504
.long 0x24929282
.long 0xD1000049, 0x013A9361
.long 0x24940882
.long 0xD1FE0048, 0x020A0903
.long 0xD1000048, 0x013A9161
	;; [unrolled: 58-line block ×3, first 2 shown]
.long 0xD3D8400F, 0x18000120
.long 0xD3D84016, 0x18000124
	;; [unrolled: 1-line block ×16, first 2 shown]
.long 0xBF800001
.long 0x0A1E1E2C
	;; [unrolled: 1-line block ×18, first 2 shown]
.long 0xD0CC0034, 0x00010042
.long 0xD100000E, 0x00D21CF2
.long 0x0A1E1F0E
.long 0xD13B000F, 0x00005B0C
.long 0x02081F0D
.long 0xBEC81E3E
.long 0x7E1E0304
.long 0xE0701000, 0x80040F09
.long 0xD0CC0034, 0x00010042
.long 0xD1000015, 0x00D22AF2
.long 0x0A2C2D15
.long 0xD13B0016, 0x00005B13
.long 0x02082D14
.long 0xBEC81E3E
.long 0x7E2C0304
.long 0xE0701000, 0x80041610
.long 0xD0CC0034, 0x00010042
.long 0xD100001C, 0x00D238F2
.long 0x0A3A3B1C
.long 0xD13B001D, 0x00005B1A
.long 0x02083B1B
.long 0xBEC81E3E
.long 0x7E3A0304
.long 0xE0701000, 0x80041D17
.long 0xD0CC0034, 0x00010042
.long 0xD1000023, 0x00D246F2
.long 0x0A484923
.long 0xD13B0024, 0x00005B21
.long 0x02084922
.long 0xBEC81E3E
.long 0x7E480304
.long 0xE0701000, 0x8004241E
.long 0xD0CC0034, 0x00010042
.long 0xD100000E, 0x00D21CF2
.long 0x0A52530E
.long 0xD13B0029, 0x00005B28
.long 0x0208530D
.long 0xBEC81E3E
.long 0x7E520304
.long 0xE0701000, 0x80042925
.long 0xD0CC0034, 0x00010042
.long 0xD1000015, 0x00D22AF2
.long 0x0A5C5D15
.long 0xD13B002E, 0x00005B2D
.long 0x02085D14
.long 0xBEC81E3E
.long 0x7E5C0304
.long 0xE0701000, 0x80042E2A
.long 0xD0CC0034, 0x00010042
.long 0xD100001C, 0x00D238F2
.long 0x0A66671C
.long 0xD13B0033, 0x00005B32
.long 0x0208671B
.long 0xBEC81E3E
.long 0x7E660304
.long 0xE0701000, 0x8004332F
.long 0xD0CC0034, 0x00010042
.long 0xD1000023, 0x00D246F2
.long 0x0A707123
.long 0xD13B0038, 0x00005B37
.long 0x02087122
.long 0xBEC81E3E
.long 0x7E700304
.long 0xE0701000, 0x80043834
.long 0xD0CC0034, 0x00010042
.long 0xD100000E, 0x00D21CF2
.long 0x0A7A7B0E
.long 0xD13B003D, 0x00005B3C
.long 0x02087B0D
.long 0xBEC81E3E
.long 0x7E7A0304
.long 0xE0701000, 0x80043D39
.long 0xD0CC0034, 0x00010042
.long 0xD1000015, 0x00D22AF2
.long 0x0A848515
.long 0xD13B0042, 0x00005B41
.long 0x02088514
.long 0xBEC81E3E
.long 0x7E840304
.long 0xE0701000, 0x8004423E
.long 0xD0CC0034, 0x00010042
.long 0xD100001C, 0x00D238F2
.long 0x0A8E8F1C
.long 0xD13B0047, 0x00005B46
.long 0x02088F1B
.long 0xBEC81E3E
.long 0x7E8E0304
.long 0xE0701000, 0x80044743
.long 0xD0CC0034, 0x00010042
.long 0xD1000023, 0x00D246F2
.long 0x0A989923
.long 0xD13B004C, 0x00005B4B
.long 0x02089922
.long 0xBEC81E3E
.long 0x7E980304
.long 0xE0701000, 0x80044C48
.long 0xD0CC0034, 0x00010042
.long 0xD100000E, 0x00D21CF2
.long 0x0AA2A30E
.long 0xD13B0051, 0x00005B50
.long 0x0208A30D
.long 0xBEC81E3E
.long 0x7EA20304
.long 0xE0701000, 0x8004514D
.long 0xD0CC0034, 0x00010042
.long 0xD1000015, 0x00D22AF2
.long 0x0AACAD15
.long 0xD13B0056, 0x00005B55
.long 0x0208AD14
.long 0xBEC81E3E
.long 0x7EAC0304
.long 0xE0701000, 0x80045652
.long 0xD0CC0034, 0x00010042
.long 0xD100001C, 0x00D238F2
.long 0x0AB6B71C
.long 0xD13B005B, 0x00005B5A
.long 0x0208B71B
.long 0xBEC81E3E
.long 0x7EB60304
.long 0xE0701000, 0x80045B57
.long 0xD0CC0034, 0x00010042
.long 0xD1000023, 0x00D246F2
.long 0x0AC0C123
.long 0xD13B0060, 0x00005B5F
.long 0x0208C122
.long 0xBEC81E3E
.long 0x7EC00304
.long 0xE0701000, 0x8004605C
.long 0xBF800000
.long 0x7EC202FF, 0x80000000
.long 0xD1196A01, 0x00011B01
.long 0x924A8D26
.long 0xD1340002, 0x00009502
.long 0x924A8D24
.long 0xD1340003, 0x00009503
.long 0xD0C9004A, 0x00003100
.long 0xD0C9004E, 0x00003301
.long 0x86CE4E4A
.long 0xD1FE0009, 0x020A0102
.long 0xD1000009, 0x013A1361
.long 0xE0501000, 0x80050C09
.long 0x924A02FF, 0x00000100
.long 0xD135000A, 0x00009500
.long 0x24141482
.long 0xD100000A, 0x013A1561
.long 0xD86C0000, 0x0D00000A
.long 0x24160082
.long 0xE0501000, 0x80100E0B
.long 0xD1FE0009, 0x020A0103
.long 0xD1000009, 0x013A1361
.long 0xD1196A04, 0x00010300
.long 0xD0C9004A, 0x00003104
.long 0xD0C9004E, 0x00003301
.long 0x86CE4E4A
.long 0xD1FE0010, 0x020A0902
.long 0xD1000010, 0x013A2161
.long 0xE0501000, 0x80051310
.long 0x924A02FF, 0x00000100
.long 0xD1350011, 0x00009504
.long 0x24222282
.long 0xD1000011, 0x013A2361
.long 0xD86C0000, 0x14000011
.long 0x24240882
.long 0xE0501000, 0x80101512
.long 0xD1FE0010, 0x020A0903
.long 0xD1000010, 0x013A2161
	;; [unrolled: 16-line block ×4, first 2 shown]
.long 0xD1196A01, 0x00010301
.long 0xD1340002, 0x00004D02
.long 0xD1340003, 0x00004903
.long 0xD0C9004A, 0x00003100
.long 0xD0C9004E, 0x00003301
.long 0x86CE4E4A
.long 0xD1FE0025, 0x020A0102
.long 0xD1000025, 0x013A4B61
.long 0xE0501000, 0x80052825
.long 0x924A02FF, 0x00000100
.long 0xD1350026, 0x00009500
.long 0x244C4C82
.long 0xD1000026, 0x013A4D61
.long 0x244E0082
.long 0xD1FE0025, 0x020A0103
.long 0xD1000025, 0x013A4B61
.long 0xD1196A04, 0x00010300
.long 0xD0C9004A, 0x00003104
.long 0xD0C9004E, 0x00003301
.long 0x86CE4E4A
.long 0xD1FE002A, 0x020A0902
.long 0xD100002A, 0x013A5561
.long 0xE0501000, 0x80052D2A
.long 0x924A02FF, 0x00000100
.long 0xD135002B, 0x00009504
.long 0x24565682
.long 0xD100002B, 0x013A5761
.long 0x24580882
.long 0xD1FE002A, 0x020A0903
.long 0xD100002A, 0x013A5561
.long 0xD1196A04, 0x00010500
.long 0xD0C9004A, 0x00003104
.long 0xD0C9004E, 0x00003301
.long 0x86CE4E4A
.long 0xD1FE002F, 0x020A0902
.long 0xD100002F, 0x013A5F61
.long 0xE0501000, 0x8005322F
.long 0x924A02FF, 0x00000100
.long 0xD1350030, 0x00009504
.long 0x24606082
.long 0xD1000030, 0x013A6161
.long 0x24620882
.long 0xD1FE002F, 0x020A0903
.long 0xD100002F, 0x013A5F61
.long 0xD1196A04, 0x00010700
.long 0xD0C9004A, 0x00003104
.long 0xD0C9004E, 0x00003301
.long 0x86CE4E4A
.long 0xD1FE0034, 0x020A0902
.long 0xD1000034, 0x013A6961
.long 0xE0501000, 0x80053734
.long 0x924A02FF, 0x00000100
.long 0xD1350035, 0x00009504
.long 0x246A6A82
.long 0xD1000035, 0x013A6B61
.long 0x246C0882
.long 0xD1FE0034, 0x020A0903
.long 0xD1000034, 0x013A6961
.long 0xD1196A01, 0x00010301
.long 0xD1340002, 0x00004D02
.long 0xD1340003, 0x00004903
.long 0xD0C9004A, 0x00003100
.long 0xD0C9004E, 0x00003301
.long 0x86CE4E4A
.long 0xD1FE0039, 0x020A0102
.long 0xD1000039, 0x013A7361
.long 0xE0501000, 0x80053C39
.long 0x924A02FF, 0x00000100
.long 0xD135003A, 0x00009500
.long 0x24747482
.long 0xD100003A, 0x013A7561
.long 0x24760082
.long 0xD1FE0039, 0x020A0103
.long 0xD1000039, 0x013A7361
.long 0xD1196A04, 0x00010300
.long 0xD0C9004A, 0x00003104
.long 0xD0C9004E, 0x00003301
.long 0x86CE4E4A
.long 0xD1FE003E, 0x020A0902
.long 0xD100003E, 0x013A7D61
.long 0xE0501000, 0x8005413E
.long 0x924A02FF, 0x00000100
.long 0xD135003F, 0x00009504
.long 0x247E7E82
.long 0xD100003F, 0x013A7F61
.long 0x24800882
.long 0xD1FE003E, 0x020A0903
.long 0xD100003E, 0x013A7D61
.long 0xD1196A04, 0x00010500
.long 0xD0C9004A, 0x00003104
.long 0xD0C9004E, 0x00003301
.long 0x86CE4E4A
.long 0xD1FE0043, 0x020A0902
.long 0xD1000043, 0x013A8761
.long 0xE0501000, 0x80054643
.long 0x924A02FF, 0x00000100
.long 0xD1350044, 0x00009504
.long 0x24888882
.long 0xD1000044, 0x013A8961
.long 0x248A0882
.long 0xD1FE0043, 0x020A0903
.long 0xD1000043, 0x013A8761
.long 0xD1196A04, 0x00010700
.long 0xD0C9004A, 0x00003104
.long 0xD0C9004E, 0x00003301
.long 0x86CE4E4A
.long 0xD1FE0048, 0x020A0902
.long 0xD1000048, 0x013A9161
.long 0xE0501000, 0x80054B48
.long 0x924A02FF, 0x00000100
.long 0xD1350049, 0x00009504
.long 0x24929282
.long 0xD1000049, 0x013A9361
.long 0x24940882
.long 0xD1FE0048, 0x020A0903
.long 0xD1000048, 0x013A9161
	;; [unrolled: 58-line block ×3, first 2 shown]
.long 0xD3D8400F, 0x18000130
.long 0xD3D84016, 0x18000134
	;; [unrolled: 1-line block ×16, first 2 shown]
.long 0xBF800001
.long 0x0A1E1E2C
	;; [unrolled: 1-line block ×18, first 2 shown]
.long 0xD0CC0034, 0x00010042
.long 0xD100000E, 0x00D21CF2
.long 0x0A1E1F0E
.long 0xD13B000F, 0x00005B0C
.long 0x02081F0D
.long 0xBEC81E3E
.long 0x7E1E0304
.long 0xE0701000, 0x80040F09
.long 0xD0CC0034, 0x00010042
.long 0xD1000015, 0x00D22AF2
.long 0x0A2C2D15
.long 0xD13B0016, 0x00005B13
.long 0x02082D14
.long 0xBEC81E3E
.long 0x7E2C0304
.long 0xE0701000, 0x80041610
	;; [unrolled: 8-line block ×16, first 2 shown]
.long 0xBF800000
.long 0x7EC202FF, 0x80000000
.long 0xD1196A01, 0x00011B01
.long 0x924A8D26
.long 0xD1340002, 0x00009502
.long 0x924A8D24
.long 0xD1340003, 0x00009503
.long 0xD0C9004A, 0x00003100
.long 0xD0C9004E, 0x00003301
.long 0x86CE4E4A
.long 0xD1FE0009, 0x020A0102
.long 0xD1000009, 0x013A1361
.long 0xE0501000, 0x80050C09
.long 0x924A02FF, 0x00000100
.long 0xD135000A, 0x00009500
.long 0x24141482
.long 0xD100000A, 0x013A1561
.long 0xD86C0000, 0x0D00000A
.long 0x24160082
.long 0xE0501000, 0x80100E0B
.long 0xD1FE0009, 0x020A0103
.long 0xD1000009, 0x013A1361
.long 0xD1196A04, 0x00010300
.long 0xD0C9004A, 0x00003104
.long 0xD0C9004E, 0x00003301
.long 0x86CE4E4A
.long 0xD1FE0010, 0x020A0902
.long 0xD1000010, 0x013A2161
.long 0xE0501000, 0x80051310
.long 0x924A02FF, 0x00000100
.long 0xD1350011, 0x00009504
.long 0x24222282
.long 0xD1000011, 0x013A2361
.long 0xD86C0000, 0x14000011
.long 0x24240882
.long 0xE0501000, 0x80101512
.long 0xD1FE0010, 0x020A0903
.long 0xD1000010, 0x013A2161
	;; [unrolled: 16-line block ×4, first 2 shown]
.long 0xD1196A01, 0x00010301
.long 0xD1340002, 0x00004D02
.long 0xD1340003, 0x00004903
.long 0xD0C9004A, 0x00003100
.long 0xD0C9004E, 0x00003301
.long 0x86CE4E4A
.long 0xD1FE0025, 0x020A0102
.long 0xD1000025, 0x013A4B61
.long 0xE0501000, 0x80052825
.long 0x924A02FF, 0x00000100
.long 0xD1350026, 0x00009500
.long 0x244C4C82
.long 0xD1000026, 0x013A4D61
.long 0x244E0082
.long 0xD1FE0025, 0x020A0103
.long 0xD1000025, 0x013A4B61
.long 0xD1196A04, 0x00010300
.long 0xD0C9004A, 0x00003104
.long 0xD0C9004E, 0x00003301
.long 0x86CE4E4A
.long 0xD1FE002A, 0x020A0902
.long 0xD100002A, 0x013A5561
.long 0xE0501000, 0x80052D2A
.long 0x924A02FF, 0x00000100
.long 0xD135002B, 0x00009504
.long 0x24565682
.long 0xD100002B, 0x013A5761
.long 0x24580882
.long 0xD1FE002A, 0x020A0903
.long 0xD100002A, 0x013A5561
.long 0xD1196A04, 0x00010500
.long 0xD0C9004A, 0x00003104
.long 0xD0C9004E, 0x00003301
.long 0x86CE4E4A
.long 0xD1FE002F, 0x020A0902
.long 0xD100002F, 0x013A5F61
.long 0xE0501000, 0x8005322F
.long 0x924A02FF, 0x00000100
.long 0xD1350030, 0x00009504
.long 0x24606082
.long 0xD1000030, 0x013A6161
.long 0x24620882
.long 0xD1FE002F, 0x020A0903
.long 0xD100002F, 0x013A5F61
.long 0xD1196A04, 0x00010700
.long 0xD0C9004A, 0x00003104
.long 0xD0C9004E, 0x00003301
.long 0x86CE4E4A
.long 0xD1FE0034, 0x020A0902
.long 0xD1000034, 0x013A6961
.long 0xE0501000, 0x80053734
.long 0x924A02FF, 0x00000100
.long 0xD1350035, 0x00009504
.long 0x246A6A82
.long 0xD1000035, 0x013A6B61
.long 0x246C0882
.long 0xD1FE0034, 0x020A0903
.long 0xD1000034, 0x013A6961
.long 0xD1196A01, 0x00010301
.long 0xD1340002, 0x00004D02
.long 0xD1340003, 0x00004903
.long 0xD0C9004A, 0x00003100
.long 0xD0C9004E, 0x00003301
.long 0x86CE4E4A
.long 0xD1FE0039, 0x020A0102
.long 0xD1000039, 0x013A7361
.long 0xE0501000, 0x80053C39
.long 0x924A02FF, 0x00000100
.long 0xD135003A, 0x00009500
.long 0x24747482
.long 0xD100003A, 0x013A7561
.long 0x24760082
.long 0xD1FE0039, 0x020A0103
.long 0xD1000039, 0x013A7361
.long 0xD1196A04, 0x00010300
.long 0xD0C9004A, 0x00003104
.long 0xD0C9004E, 0x00003301
.long 0x86CE4E4A
.long 0xD1FE003E, 0x020A0902
.long 0xD100003E, 0x013A7D61
.long 0xE0501000, 0x8005413E
.long 0x924A02FF, 0x00000100
.long 0xD135003F, 0x00009504
.long 0x247E7E82
.long 0xD100003F, 0x013A7F61
.long 0x24800882
.long 0xD1FE003E, 0x020A0903
.long 0xD100003E, 0x013A7D61
.long 0xD1196A04, 0x00010500
.long 0xD0C9004A, 0x00003104
.long 0xD0C9004E, 0x00003301
.long 0x86CE4E4A
.long 0xD1FE0043, 0x020A0902
.long 0xD1000043, 0x013A8761
.long 0xE0501000, 0x80054643
.long 0x924A02FF, 0x00000100
.long 0xD1350044, 0x00009504
.long 0x24888882
.long 0xD1000044, 0x013A8961
.long 0x248A0882
.long 0xD1FE0043, 0x020A0903
.long 0xD1000043, 0x013A8761
.long 0xD1196A04, 0x00010700
.long 0xD0C9004A, 0x00003104
.long 0xD0C9004E, 0x00003301
.long 0x86CE4E4A
.long 0xD1FE0048, 0x020A0902
.long 0xD1000048, 0x013A9161
.long 0xE0501000, 0x80054B48
.long 0x924A02FF, 0x00000100
.long 0xD1350049, 0x00009504
.long 0x24929282
.long 0xD1000049, 0x013A9361
.long 0x24940882
.long 0xD1FE0048, 0x020A0903
.long 0xD1000048, 0x013A9161
	;; [unrolled: 58-line block ×3, first 2 shown]
.long 0xD3D8400F, 0x18000140
.long 0xD3D84016, 0x18000144
	;; [unrolled: 1-line block ×16, first 2 shown]
.long 0xBF800001
.long 0x0A1E1E2C
	;; [unrolled: 1-line block ×18, first 2 shown]
.long 0xD0CC0034, 0x00010042
.long 0xD100000E, 0x00D21CF2
.long 0x0A1E1F0E
.long 0xD13B000F, 0x00005B0C
.long 0x02081F0D
.long 0xBEC81E3E
.long 0x7E1E0304
.long 0xE0701000, 0x80040F09
.long 0xD0CC0034, 0x00010042
.long 0xD1000015, 0x00D22AF2
.long 0x0A2C2D15
.long 0xD13B0016, 0x00005B13
.long 0x02082D14
.long 0xBEC81E3E
.long 0x7E2C0304
.long 0xE0701000, 0x80041610
	;; [unrolled: 8-line block ×16, first 2 shown]
.long 0xBF800000
.long 0x7EC202FF, 0x80000000
.long 0xD1196A01, 0x00011B01
.long 0x924A8D26
.long 0xD1340002, 0x00009502
.long 0x924A8D24
.long 0xD1340003, 0x00009503
.long 0xD0C9004A, 0x00003100
.long 0xD0C9004E, 0x00003301
.long 0x86CE4E4A
.long 0xD1FE0009, 0x020A0102
.long 0xD1000009, 0x013A1361
.long 0xE0501000, 0x80050C09
.long 0x924A02FF, 0x00000100
.long 0xD135000A, 0x00009500
.long 0x24141482
.long 0xD100000A, 0x013A1561
.long 0xD86C0000, 0x0D00000A
.long 0x24160082
.long 0xE0501000, 0x80100E0B
.long 0xD1FE0009, 0x020A0103
.long 0xD1000009, 0x013A1361
.long 0xD1196A04, 0x00010300
.long 0xD0C9004A, 0x00003104
.long 0xD0C9004E, 0x00003301
.long 0x86CE4E4A
.long 0xD1FE0010, 0x020A0902
.long 0xD1000010, 0x013A2161
.long 0xE0501000, 0x80051310
.long 0x924A02FF, 0x00000100
.long 0xD1350011, 0x00009504
.long 0x24222282
.long 0xD1000011, 0x013A2361
.long 0xD86C0000, 0x14000011
.long 0x24240882
.long 0xE0501000, 0x80101512
.long 0xD1FE0010, 0x020A0903
.long 0xD1000010, 0x013A2161
	;; [unrolled: 16-line block ×4, first 2 shown]
.long 0xD1196A01, 0x00010301
.long 0xD1340002, 0x00004D02
.long 0xD1340003, 0x00004903
.long 0xD0C9004A, 0x00003100
.long 0xD0C9004E, 0x00003301
.long 0x86CE4E4A
.long 0xD1FE0025, 0x020A0102
.long 0xD1000025, 0x013A4B61
.long 0xE0501000, 0x80052825
.long 0x924A02FF, 0x00000100
.long 0xD1350026, 0x00009500
.long 0x244C4C82
.long 0xD1000026, 0x013A4D61
.long 0x244E0082
.long 0xD1FE0025, 0x020A0103
.long 0xD1000025, 0x013A4B61
.long 0xD1196A04, 0x00010300
.long 0xD0C9004A, 0x00003104
.long 0xD0C9004E, 0x00003301
.long 0x86CE4E4A
.long 0xD1FE002A, 0x020A0902
.long 0xD100002A, 0x013A5561
.long 0xE0501000, 0x80052D2A
.long 0x924A02FF, 0x00000100
.long 0xD135002B, 0x00009504
.long 0x24565682
.long 0xD100002B, 0x013A5761
.long 0x24580882
.long 0xD1FE002A, 0x020A0903
.long 0xD100002A, 0x013A5561
.long 0xD1196A04, 0x00010500
.long 0xD0C9004A, 0x00003104
.long 0xD0C9004E, 0x00003301
.long 0x86CE4E4A
.long 0xD1FE002F, 0x020A0902
.long 0xD100002F, 0x013A5F61
.long 0xE0501000, 0x8005322F
.long 0x924A02FF, 0x00000100
.long 0xD1350030, 0x00009504
.long 0x24606082
.long 0xD1000030, 0x013A6161
.long 0x24620882
.long 0xD1FE002F, 0x020A0903
.long 0xD100002F, 0x013A5F61
.long 0xD1196A04, 0x00010700
.long 0xD0C9004A, 0x00003104
.long 0xD0C9004E, 0x00003301
.long 0x86CE4E4A
.long 0xD1FE0034, 0x020A0902
.long 0xD1000034, 0x013A6961
.long 0xE0501000, 0x80053734
.long 0x924A02FF, 0x00000100
.long 0xD1350035, 0x00009504
.long 0x246A6A82
.long 0xD1000035, 0x013A6B61
.long 0x246C0882
.long 0xD1FE0034, 0x020A0903
.long 0xD1000034, 0x013A6961
.long 0xD1196A01, 0x00010301
.long 0xD1340002, 0x00004D02
.long 0xD1340003, 0x00004903
.long 0xD0C9004A, 0x00003100
.long 0xD0C9004E, 0x00003301
.long 0x86CE4E4A
.long 0xD1FE0039, 0x020A0102
.long 0xD1000039, 0x013A7361
.long 0xE0501000, 0x80053C39
.long 0x924A02FF, 0x00000100
.long 0xD135003A, 0x00009500
.long 0x24747482
.long 0xD100003A, 0x013A7561
.long 0x24760082
.long 0xD1FE0039, 0x020A0103
.long 0xD1000039, 0x013A7361
.long 0xD1196A04, 0x00010300
.long 0xD0C9004A, 0x00003104
.long 0xD0C9004E, 0x00003301
.long 0x86CE4E4A
.long 0xD1FE003E, 0x020A0902
.long 0xD100003E, 0x013A7D61
.long 0xE0501000, 0x8005413E
.long 0x924A02FF, 0x00000100
.long 0xD135003F, 0x00009504
.long 0x247E7E82
.long 0xD100003F, 0x013A7F61
.long 0x24800882
.long 0xD1FE003E, 0x020A0903
.long 0xD100003E, 0x013A7D61
.long 0xD1196A04, 0x00010500
.long 0xD0C9004A, 0x00003104
.long 0xD0C9004E, 0x00003301
.long 0x86CE4E4A
.long 0xD1FE0043, 0x020A0902
.long 0xD1000043, 0x013A8761
.long 0xE0501000, 0x80054643
.long 0x924A02FF, 0x00000100
.long 0xD1350044, 0x00009504
.long 0x24888882
.long 0xD1000044, 0x013A8961
.long 0x248A0882
.long 0xD1FE0043, 0x020A0903
.long 0xD1000043, 0x013A8761
.long 0xD1196A04, 0x00010700
.long 0xD0C9004A, 0x00003104
.long 0xD0C9004E, 0x00003301
.long 0x86CE4E4A
.long 0xD1FE0048, 0x020A0902
.long 0xD1000048, 0x013A9161
.long 0xE0501000, 0x80054B48
.long 0x924A02FF, 0x00000100
.long 0xD1350049, 0x00009504
.long 0x24929282
.long 0xD1000049, 0x013A9361
.long 0x24940882
.long 0xD1FE0048, 0x020A0903
.long 0xD1000048, 0x013A9161
	;; [unrolled: 58-line block ×3, first 2 shown]
.long 0xD3D8400F, 0x18000150
.long 0xD3D84016, 0x18000154
.long 0xD3D8401D, 0x18000158
.long 0xD3D84024, 0x1800015C
.long 0xD3D84029, 0x18000151
.long 0xD3D8402E, 0x18000155
.long 0xD3D84033, 0x18000159
.long 0xD3D84038, 0x1800015D
.long 0xD3D8403D, 0x18000152
.long 0xD3D84042, 0x18000156
.long 0xD3D84047, 0x1800015A
.long 0xD3D8404C, 0x1800015E
.long 0xD3D84051, 0x18000153
.long 0xD3D84056, 0x18000157
.long 0xD3D8405B, 0x1800015B
.long 0xD3D84060, 0x1800015F
.long 0xBF800001
.long 0x0A1E1E2C
	;; [unrolled: 1-line block ×18, first 2 shown]
.long 0xD0CC0034, 0x00010042
.long 0xD100000E, 0x00D21CF2
.long 0x0A1E1F0E
.long 0xD13B000F, 0x00005B0C
.long 0x02081F0D
.long 0xBEC81E3E
.long 0x7E1E0304
.long 0xE0701000, 0x80040F09
.long 0xD0CC0034, 0x00010042
.long 0xD1000015, 0x00D22AF2
.long 0x0A2C2D15
.long 0xD13B0016, 0x00005B13
.long 0x02082D14
.long 0xBEC81E3E
.long 0x7E2C0304
.long 0xE0701000, 0x80041610
	;; [unrolled: 8-line block ×16, first 2 shown]
.long 0xBF800000
.long 0x7EC202FF, 0x80000000
.long 0xD1196A01, 0x00011B01
.long 0x924A8D26
.long 0xD1340002, 0x00009502
.long 0x924A8D24
.long 0xD1340003, 0x00009503
.long 0xD0C9004A, 0x00003100
.long 0xD0C9004E, 0x00003301
.long 0x86CE4E4A
.long 0xD1FE0009, 0x020A0102
.long 0xD1000009, 0x013A1361
.long 0xE0501000, 0x80050C09
.long 0x924A02FF, 0x00000100
.long 0xD135000A, 0x00009500
.long 0x24141482
.long 0xD100000A, 0x013A1561
.long 0xD86C0000, 0x0D00000A
.long 0x24160082
.long 0xE0501000, 0x80100E0B
.long 0xD1FE0009, 0x020A0103
.long 0xD1000009, 0x013A1361
.long 0xD1196A04, 0x00010300
.long 0xD0C9004A, 0x00003104
.long 0xD0C9004E, 0x00003301
.long 0x86CE4E4A
.long 0xD1FE0010, 0x020A0902
.long 0xD1000010, 0x013A2161
.long 0xE0501000, 0x80051310
.long 0x924A02FF, 0x00000100
.long 0xD1350011, 0x00009504
.long 0x24222282
.long 0xD1000011, 0x013A2361
.long 0xD86C0000, 0x14000011
.long 0x24240882
.long 0xE0501000, 0x80101512
.long 0xD1FE0010, 0x020A0903
.long 0xD1000010, 0x013A2161
	;; [unrolled: 16-line block ×4, first 2 shown]
.long 0xD1196A01, 0x00010301
.long 0xD1340002, 0x00004D02
.long 0xD1340003, 0x00004903
.long 0xD0C9004A, 0x00003100
.long 0xD0C9004E, 0x00003301
.long 0x86CE4E4A
.long 0xD1FE0025, 0x020A0102
.long 0xD1000025, 0x013A4B61
.long 0xE0501000, 0x80052825
.long 0x924A02FF, 0x00000100
.long 0xD1350026, 0x00009500
.long 0x244C4C82
.long 0xD1000026, 0x013A4D61
.long 0x244E0082
.long 0xD1FE0025, 0x020A0103
.long 0xD1000025, 0x013A4B61
.long 0xD1196A04, 0x00010300
.long 0xD0C9004A, 0x00003104
.long 0xD0C9004E, 0x00003301
.long 0x86CE4E4A
.long 0xD1FE002A, 0x020A0902
.long 0xD100002A, 0x013A5561
.long 0xE0501000, 0x80052D2A
.long 0x924A02FF, 0x00000100
.long 0xD135002B, 0x00009504
.long 0x24565682
.long 0xD100002B, 0x013A5761
.long 0x24580882
.long 0xD1FE002A, 0x020A0903
.long 0xD100002A, 0x013A5561
.long 0xD1196A04, 0x00010500
.long 0xD0C9004A, 0x00003104
.long 0xD0C9004E, 0x00003301
.long 0x86CE4E4A
.long 0xD1FE002F, 0x020A0902
.long 0xD100002F, 0x013A5F61
.long 0xE0501000, 0x8005322F
.long 0x924A02FF, 0x00000100
.long 0xD1350030, 0x00009504
.long 0x24606082
.long 0xD1000030, 0x013A6161
.long 0x24620882
.long 0xD1FE002F, 0x020A0903
.long 0xD100002F, 0x013A5F61
.long 0xD1196A04, 0x00010700
.long 0xD0C9004A, 0x00003104
.long 0xD0C9004E, 0x00003301
.long 0x86CE4E4A
.long 0xD1FE0034, 0x020A0902
.long 0xD1000034, 0x013A6961
.long 0xE0501000, 0x80053734
.long 0x924A02FF, 0x00000100
.long 0xD1350035, 0x00009504
.long 0x246A6A82
.long 0xD1000035, 0x013A6B61
.long 0x246C0882
.long 0xD1FE0034, 0x020A0903
.long 0xD1000034, 0x013A6961
.long 0xD1196A01, 0x00010301
.long 0xD1340002, 0x00004D02
.long 0xD1340003, 0x00004903
.long 0xD0C9004A, 0x00003100
.long 0xD0C9004E, 0x00003301
.long 0x86CE4E4A
.long 0xD1FE0039, 0x020A0102
.long 0xD1000039, 0x013A7361
.long 0xE0501000, 0x80053C39
.long 0x924A02FF, 0x00000100
.long 0xD135003A, 0x00009500
.long 0x24747482
.long 0xD100003A, 0x013A7561
.long 0x24760082
.long 0xD1FE0039, 0x020A0103
.long 0xD1000039, 0x013A7361
.long 0xD1196A04, 0x00010300
.long 0xD0C9004A, 0x00003104
.long 0xD0C9004E, 0x00003301
.long 0x86CE4E4A
.long 0xD1FE003E, 0x020A0902
.long 0xD100003E, 0x013A7D61
.long 0xE0501000, 0x8005413E
.long 0x924A02FF, 0x00000100
.long 0xD135003F, 0x00009504
.long 0x247E7E82
.long 0xD100003F, 0x013A7F61
.long 0x24800882
.long 0xD1FE003E, 0x020A0903
.long 0xD100003E, 0x013A7D61
.long 0xD1196A04, 0x00010500
.long 0xD0C9004A, 0x00003104
.long 0xD0C9004E, 0x00003301
.long 0x86CE4E4A
.long 0xD1FE0043, 0x020A0902
.long 0xD1000043, 0x013A8761
.long 0xE0501000, 0x80054643
.long 0x924A02FF, 0x00000100
.long 0xD1350044, 0x00009504
.long 0x24888882
.long 0xD1000044, 0x013A8961
.long 0x248A0882
.long 0xD1FE0043, 0x020A0903
.long 0xD1000043, 0x013A8761
.long 0xD1196A04, 0x00010700
.long 0xD0C9004A, 0x00003104
.long 0xD0C9004E, 0x00003301
.long 0x86CE4E4A
.long 0xD1FE0048, 0x020A0902
.long 0xD1000048, 0x013A9161
.long 0xE0501000, 0x80054B48
.long 0x924A02FF, 0x00000100
.long 0xD1350049, 0x00009504
.long 0x24929282
.long 0xD1000049, 0x013A9361
.long 0x24940882
.long 0xD1FE0048, 0x020A0903
.long 0xD1000048, 0x013A9161
	;; [unrolled: 58-line block ×3, first 2 shown]
.long 0xD3D8400F, 0x18000160
.long 0xD3D84016, 0x18000164
	;; [unrolled: 1-line block ×16, first 2 shown]
.long 0xBF800001
.long 0x0A1E1E2C
	;; [unrolled: 1-line block ×18, first 2 shown]
.long 0xD0CC0034, 0x00010042
.long 0xD100000E, 0x00D21CF2
.long 0x0A1E1F0E
.long 0xD13B000F, 0x00005B0C
.long 0x02081F0D
.long 0xBEC81E3E
.long 0x7E1E0304
.long 0xE0701000, 0x80040F09
.long 0xD0CC0034, 0x00010042
.long 0xD1000015, 0x00D22AF2
.long 0x0A2C2D15
.long 0xD13B0016, 0x00005B13
.long 0x02082D14
.long 0xBEC81E3E
.long 0x7E2C0304
.long 0xE0701000, 0x80041610
	;; [unrolled: 8-line block ×16, first 2 shown]
.long 0xBF800000
.long 0x7EC202FF, 0x80000000
.long 0xD1196A01, 0x00011B01
.long 0x924A8D26
.long 0xD1340002, 0x00009502
.long 0x924A8D24
.long 0xD1340003, 0x00009503
.long 0xD0C9004A, 0x00003100
.long 0xD0C9004E, 0x00003301
.long 0x86CE4E4A
.long 0xD1FE0009, 0x020A0102
.long 0xD1000009, 0x013A1361
.long 0xE0501000, 0x80050C09
.long 0x924A02FF, 0x00000100
.long 0xD135000A, 0x00009500
.long 0x24141482
.long 0xD100000A, 0x013A1561
.long 0xD86C0000, 0x0D00000A
.long 0x24160082
.long 0xE0501000, 0x80100E0B
.long 0xD1FE0009, 0x020A0103
.long 0xD1000009, 0x013A1361
.long 0xD1196A04, 0x00010300
.long 0xD0C9004A, 0x00003104
.long 0xD0C9004E, 0x00003301
.long 0x86CE4E4A
.long 0xD1FE0010, 0x020A0902
.long 0xD1000010, 0x013A2161
.long 0xE0501000, 0x80051310
.long 0x924A02FF, 0x00000100
.long 0xD1350011, 0x00009504
.long 0x24222282
.long 0xD1000011, 0x013A2361
.long 0xD86C0000, 0x14000011
.long 0x24240882
.long 0xE0501000, 0x80101512
.long 0xD1FE0010, 0x020A0903
.long 0xD1000010, 0x013A2161
	;; [unrolled: 16-line block ×4, first 2 shown]
.long 0xD1196A01, 0x00010301
.long 0xD1340002, 0x00004D02
.long 0xD1340003, 0x00004903
.long 0xD0C9004A, 0x00003100
.long 0xD0C9004E, 0x00003301
.long 0x86CE4E4A
.long 0xD1FE0025, 0x020A0102
.long 0xD1000025, 0x013A4B61
.long 0xE0501000, 0x80052825
.long 0x924A02FF, 0x00000100
.long 0xD1350026, 0x00009500
.long 0x244C4C82
.long 0xD1000026, 0x013A4D61
.long 0x244E0082
.long 0xD1FE0025, 0x020A0103
.long 0xD1000025, 0x013A4B61
.long 0xD1196A04, 0x00010300
.long 0xD0C9004A, 0x00003104
.long 0xD0C9004E, 0x00003301
.long 0x86CE4E4A
.long 0xD1FE002A, 0x020A0902
.long 0xD100002A, 0x013A5561
.long 0xE0501000, 0x80052D2A
.long 0x924A02FF, 0x00000100
.long 0xD135002B, 0x00009504
.long 0x24565682
.long 0xD100002B, 0x013A5761
.long 0x24580882
.long 0xD1FE002A, 0x020A0903
.long 0xD100002A, 0x013A5561
.long 0xD1196A04, 0x00010500
.long 0xD0C9004A, 0x00003104
.long 0xD0C9004E, 0x00003301
.long 0x86CE4E4A
.long 0xD1FE002F, 0x020A0902
.long 0xD100002F, 0x013A5F61
.long 0xE0501000, 0x8005322F
.long 0x924A02FF, 0x00000100
.long 0xD1350030, 0x00009504
.long 0x24606082
.long 0xD1000030, 0x013A6161
.long 0x24620882
.long 0xD1FE002F, 0x020A0903
.long 0xD100002F, 0x013A5F61
.long 0xD1196A04, 0x00010700
.long 0xD0C9004A, 0x00003104
.long 0xD0C9004E, 0x00003301
.long 0x86CE4E4A
.long 0xD1FE0034, 0x020A0902
.long 0xD1000034, 0x013A6961
.long 0xE0501000, 0x80053734
.long 0x924A02FF, 0x00000100
.long 0xD1350035, 0x00009504
.long 0x246A6A82
.long 0xD1000035, 0x013A6B61
.long 0x246C0882
.long 0xD1FE0034, 0x020A0903
.long 0xD1000034, 0x013A6961
.long 0xD1196A01, 0x00010301
.long 0xD1340002, 0x00004D02
.long 0xD1340003, 0x00004903
.long 0xD0C9004A, 0x00003100
.long 0xD0C9004E, 0x00003301
.long 0x86CE4E4A
.long 0xD1FE0039, 0x020A0102
.long 0xD1000039, 0x013A7361
.long 0xE0501000, 0x80053C39
.long 0x924A02FF, 0x00000100
.long 0xD135003A, 0x00009500
.long 0x24747482
.long 0xD100003A, 0x013A7561
.long 0x24760082
.long 0xD1FE0039, 0x020A0103
.long 0xD1000039, 0x013A7361
.long 0xD1196A04, 0x00010300
.long 0xD0C9004A, 0x00003104
.long 0xD0C9004E, 0x00003301
.long 0x86CE4E4A
.long 0xD1FE003E, 0x020A0902
.long 0xD100003E, 0x013A7D61
.long 0xE0501000, 0x8005413E
.long 0x924A02FF, 0x00000100
.long 0xD135003F, 0x00009504
.long 0x247E7E82
.long 0xD100003F, 0x013A7F61
.long 0x24800882
.long 0xD1FE003E, 0x020A0903
.long 0xD100003E, 0x013A7D61
.long 0xD1196A04, 0x00010500
.long 0xD0C9004A, 0x00003104
.long 0xD0C9004E, 0x00003301
.long 0x86CE4E4A
.long 0xD1FE0043, 0x020A0902
.long 0xD1000043, 0x013A8761
.long 0xE0501000, 0x80054643
.long 0x924A02FF, 0x00000100
.long 0xD1350044, 0x00009504
.long 0x24888882
.long 0xD1000044, 0x013A8961
.long 0x248A0882
.long 0xD1FE0043, 0x020A0903
.long 0xD1000043, 0x013A8761
.long 0xD1196A04, 0x00010700
.long 0xD0C9004A, 0x00003104
.long 0xD0C9004E, 0x00003301
.long 0x86CE4E4A
.long 0xD1FE0048, 0x020A0902
.long 0xD1000048, 0x013A9161
.long 0xE0501000, 0x80054B48
.long 0x924A02FF, 0x00000100
.long 0xD1350049, 0x00009504
.long 0x24929282
.long 0xD1000049, 0x013A9361
.long 0x24940882
.long 0xD1FE0048, 0x020A0903
.long 0xD1000048, 0x013A9161
	;; [unrolled: 58-line block ×3, first 2 shown]
.long 0xD3D8400F, 0x18000170
.long 0xD3D84016, 0x18000174
	;; [unrolled: 1-line block ×16, first 2 shown]
.long 0xBF800001
.long 0x0A1E1E2C
	;; [unrolled: 1-line block ×18, first 2 shown]
.long 0xD0CC0034, 0x00010042
.long 0xD100000E, 0x00D21CF2
.long 0x0A1E1F0E
.long 0xD13B000F, 0x00005B0C
.long 0x02081F0D
.long 0xBEC81E3E
.long 0x7E1E0304
.long 0xE0701000, 0x80040F09
.long 0xD0CC0034, 0x00010042
.long 0xD1000015, 0x00D22AF2
.long 0x0A2C2D15
.long 0xD13B0016, 0x00005B13
.long 0x02082D14
.long 0xBEC81E3E
.long 0x7E2C0304
.long 0xE0701000, 0x80041610
	;; [unrolled: 8-line block ×16, first 2 shown]
.long 0xBF800000
.long 0x7EC202FF, 0x80000000
.long 0xD1196A01, 0x00011B01
.long 0x924A8D26
.long 0xD1340002, 0x00009502
.long 0x924A8D24
.long 0xD1340003, 0x00009503
.long 0xD0C9004A, 0x00003100
.long 0xD0C9004E, 0x00003301
.long 0x86CE4E4A
.long 0xD1FE0009, 0x020A0102
.long 0xD1000009, 0x013A1361
.long 0xE0501000, 0x80050C09
.long 0x924A02FF, 0x00000100
.long 0xD135000A, 0x00009500
.long 0x24141482
.long 0xD100000A, 0x013A1561
.long 0xD86C0000, 0x0D00000A
.long 0x24160082
.long 0xE0501000, 0x80100E0B
.long 0xD1FE0009, 0x020A0103
.long 0xD1000009, 0x013A1361
.long 0xD1196A04, 0x00010300
.long 0xD0C9004A, 0x00003104
.long 0xD0C9004E, 0x00003301
.long 0x86CE4E4A
.long 0xD1FE0010, 0x020A0902
.long 0xD1000010, 0x013A2161
.long 0xE0501000, 0x80051310
.long 0x924A02FF, 0x00000100
.long 0xD1350011, 0x00009504
.long 0x24222282
.long 0xD1000011, 0x013A2361
.long 0xD86C0000, 0x14000011
.long 0x24240882
.long 0xE0501000, 0x80101512
.long 0xD1FE0010, 0x020A0903
.long 0xD1000010, 0x013A2161
	;; [unrolled: 16-line block ×4, first 2 shown]
.long 0xD1196A01, 0x00010301
.long 0xD1340002, 0x00004D02
.long 0xD1340003, 0x00004903
.long 0xD0C9004A, 0x00003100
.long 0xD0C9004E, 0x00003301
.long 0x86CE4E4A
.long 0xD1FE0025, 0x020A0102
.long 0xD1000025, 0x013A4B61
.long 0xE0501000, 0x80052825
.long 0x924A02FF, 0x00000100
.long 0xD1350026, 0x00009500
.long 0x244C4C82
.long 0xD1000026, 0x013A4D61
.long 0x244E0082
.long 0xD1FE0025, 0x020A0103
.long 0xD1000025, 0x013A4B61
.long 0xD1196A04, 0x00010300
.long 0xD0C9004A, 0x00003104
.long 0xD0C9004E, 0x00003301
.long 0x86CE4E4A
.long 0xD1FE002A, 0x020A0902
.long 0xD100002A, 0x013A5561
.long 0xE0501000, 0x80052D2A
.long 0x924A02FF, 0x00000100
.long 0xD135002B, 0x00009504
.long 0x24565682
.long 0xD100002B, 0x013A5761
.long 0x24580882
.long 0xD1FE002A, 0x020A0903
.long 0xD100002A, 0x013A5561
.long 0xD1196A04, 0x00010500
.long 0xD0C9004A, 0x00003104
.long 0xD0C9004E, 0x00003301
.long 0x86CE4E4A
.long 0xD1FE002F, 0x020A0902
.long 0xD100002F, 0x013A5F61
.long 0xE0501000, 0x8005322F
.long 0x924A02FF, 0x00000100
.long 0xD1350030, 0x00009504
.long 0x24606082
.long 0xD1000030, 0x013A6161
.long 0x24620882
.long 0xD1FE002F, 0x020A0903
.long 0xD100002F, 0x013A5F61
.long 0xD1196A04, 0x00010700
.long 0xD0C9004A, 0x00003104
.long 0xD0C9004E, 0x00003301
.long 0x86CE4E4A
.long 0xD1FE0034, 0x020A0902
.long 0xD1000034, 0x013A6961
.long 0xE0501000, 0x80053734
.long 0x924A02FF, 0x00000100
.long 0xD1350035, 0x00009504
.long 0x246A6A82
.long 0xD1000035, 0x013A6B61
.long 0x246C0882
.long 0xD1FE0034, 0x020A0903
.long 0xD1000034, 0x013A6961
.long 0xD1196A01, 0x00010301
.long 0xD1340002, 0x00004D02
.long 0xD1340003, 0x00004903
.long 0xD0C9004A, 0x00003100
.long 0xD0C9004E, 0x00003301
.long 0x86CE4E4A
.long 0xD1FE0039, 0x020A0102
.long 0xD1000039, 0x013A7361
.long 0xE0501000, 0x80053C39
.long 0x924A02FF, 0x00000100
.long 0xD135003A, 0x00009500
.long 0x24747482
.long 0xD100003A, 0x013A7561
.long 0x24760082
.long 0xD1FE0039, 0x020A0103
.long 0xD1000039, 0x013A7361
.long 0xD1196A04, 0x00010300
.long 0xD0C9004A, 0x00003104
.long 0xD0C9004E, 0x00003301
.long 0x86CE4E4A
.long 0xD1FE003E, 0x020A0902
.long 0xD100003E, 0x013A7D61
.long 0xE0501000, 0x8005413E
.long 0x924A02FF, 0x00000100
.long 0xD135003F, 0x00009504
.long 0x247E7E82
.long 0xD100003F, 0x013A7F61
.long 0x24800882
.long 0xD1FE003E, 0x020A0903
.long 0xD100003E, 0x013A7D61
.long 0xD1196A04, 0x00010500
.long 0xD0C9004A, 0x00003104
.long 0xD0C9004E, 0x00003301
.long 0x86CE4E4A
.long 0xD1FE0043, 0x020A0902
.long 0xD1000043, 0x013A8761
.long 0xE0501000, 0x80054643
.long 0x924A02FF, 0x00000100
.long 0xD1350044, 0x00009504
.long 0x24888882
.long 0xD1000044, 0x013A8961
.long 0x248A0882
.long 0xD1FE0043, 0x020A0903
.long 0xD1000043, 0x013A8761
.long 0xD1196A04, 0x00010700
.long 0xD0C9004A, 0x00003104
.long 0xD0C9004E, 0x00003301
.long 0x86CE4E4A
.long 0xD1FE0048, 0x020A0902
.long 0xD1000048, 0x013A9161
.long 0xE0501000, 0x80054B48
.long 0x924A02FF, 0x00000100
.long 0xD1350049, 0x00009504
.long 0x24929282
.long 0xD1000049, 0x013A9361
.long 0x24940882
.long 0xD1FE0048, 0x020A0903
.long 0xD1000048, 0x013A9161
	;; [unrolled: 58-line block ×3, first 2 shown]
.long 0xD3D8400F, 0x18000180
.long 0xD3D84016, 0x18000184
	;; [unrolled: 1-line block ×16, first 2 shown]
.long 0xBF800001
.long 0x0A1E1E2C
	;; [unrolled: 1-line block ×18, first 2 shown]
.long 0xD0CC0034, 0x00010042
.long 0xD100000E, 0x00D21CF2
.long 0x0A1E1F0E
.long 0xD13B000F, 0x00005B0C
.long 0x02081F0D
.long 0xBEC81E3E
.long 0x7E1E0304
.long 0xE0701000, 0x80040F09
.long 0xD0CC0034, 0x00010042
.long 0xD1000015, 0x00D22AF2
.long 0x0A2C2D15
.long 0xD13B0016, 0x00005B13
.long 0x02082D14
.long 0xBEC81E3E
.long 0x7E2C0304
.long 0xE0701000, 0x80041610
	;; [unrolled: 8-line block ×16, first 2 shown]
.long 0xBF800000
.long 0x7EC202FF, 0x80000000
.long 0xD1196A01, 0x00011B01
.long 0x924A8D26
.long 0xD1340002, 0x00009502
.long 0x924A8D24
.long 0xD1340003, 0x00009503
.long 0xD0C9004A, 0x00003100
.long 0xD0C9004E, 0x00003301
.long 0x86CE4E4A
.long 0xD1FE0009, 0x020A0102
.long 0xD1000009, 0x013A1361
.long 0xE0501000, 0x80050C09
.long 0x924A02FF, 0x00000100
.long 0xD135000A, 0x00009500
.long 0x24141482
.long 0xD100000A, 0x013A1561
.long 0xD86C0000, 0x0D00000A
.long 0x24160082
.long 0xE0501000, 0x80100E0B
.long 0xD1FE0009, 0x020A0103
.long 0xD1000009, 0x013A1361
.long 0xD1196A04, 0x00010300
.long 0xD0C9004A, 0x00003104
.long 0xD0C9004E, 0x00003301
.long 0x86CE4E4A
.long 0xD1FE0010, 0x020A0902
.long 0xD1000010, 0x013A2161
.long 0xE0501000, 0x80051310
.long 0x924A02FF, 0x00000100
.long 0xD1350011, 0x00009504
.long 0x24222282
.long 0xD1000011, 0x013A2361
.long 0xD86C0000, 0x14000011
.long 0x24240882
.long 0xE0501000, 0x80101512
.long 0xD1FE0010, 0x020A0903
.long 0xD1000010, 0x013A2161
	;; [unrolled: 16-line block ×4, first 2 shown]
.long 0xD1196A01, 0x00010301
.long 0xD1340002, 0x00004D02
.long 0xD1340003, 0x00004903
.long 0xD0C9004A, 0x00003100
.long 0xD0C9004E, 0x00003301
.long 0x86CE4E4A
.long 0xD1FE0025, 0x020A0102
.long 0xD1000025, 0x013A4B61
.long 0xE0501000, 0x80052825
.long 0x924A02FF, 0x00000100
.long 0xD1350026, 0x00009500
.long 0x244C4C82
.long 0xD1000026, 0x013A4D61
.long 0x244E0082
.long 0xD1FE0025, 0x020A0103
.long 0xD1000025, 0x013A4B61
.long 0xD1196A04, 0x00010300
.long 0xD0C9004A, 0x00003104
.long 0xD0C9004E, 0x00003301
.long 0x86CE4E4A
.long 0xD1FE002A, 0x020A0902
.long 0xD100002A, 0x013A5561
.long 0xE0501000, 0x80052D2A
.long 0x924A02FF, 0x00000100
.long 0xD135002B, 0x00009504
.long 0x24565682
.long 0xD100002B, 0x013A5761
.long 0x24580882
.long 0xD1FE002A, 0x020A0903
.long 0xD100002A, 0x013A5561
.long 0xD1196A04, 0x00010500
.long 0xD0C9004A, 0x00003104
.long 0xD0C9004E, 0x00003301
.long 0x86CE4E4A
.long 0xD1FE002F, 0x020A0902
.long 0xD100002F, 0x013A5F61
.long 0xE0501000, 0x8005322F
.long 0x924A02FF, 0x00000100
.long 0xD1350030, 0x00009504
.long 0x24606082
.long 0xD1000030, 0x013A6161
.long 0x24620882
.long 0xD1FE002F, 0x020A0903
.long 0xD100002F, 0x013A5F61
.long 0xD1196A04, 0x00010700
.long 0xD0C9004A, 0x00003104
.long 0xD0C9004E, 0x00003301
.long 0x86CE4E4A
.long 0xD1FE0034, 0x020A0902
.long 0xD1000034, 0x013A6961
.long 0xE0501000, 0x80053734
.long 0x924A02FF, 0x00000100
.long 0xD1350035, 0x00009504
.long 0x246A6A82
.long 0xD1000035, 0x013A6B61
.long 0x246C0882
.long 0xD1FE0034, 0x020A0903
.long 0xD1000034, 0x013A6961
.long 0xD1196A01, 0x00010301
.long 0xD1340002, 0x00004D02
.long 0xD1340003, 0x00004903
.long 0xD0C9004A, 0x00003100
.long 0xD0C9004E, 0x00003301
.long 0x86CE4E4A
.long 0xD1FE0039, 0x020A0102
.long 0xD1000039, 0x013A7361
.long 0xE0501000, 0x80053C39
.long 0x924A02FF, 0x00000100
.long 0xD135003A, 0x00009500
.long 0x24747482
.long 0xD100003A, 0x013A7561
.long 0x24760082
.long 0xD1FE0039, 0x020A0103
.long 0xD1000039, 0x013A7361
.long 0xD1196A04, 0x00010300
.long 0xD0C9004A, 0x00003104
.long 0xD0C9004E, 0x00003301
.long 0x86CE4E4A
.long 0xD1FE003E, 0x020A0902
.long 0xD100003E, 0x013A7D61
.long 0xE0501000, 0x8005413E
.long 0x924A02FF, 0x00000100
.long 0xD135003F, 0x00009504
.long 0x247E7E82
.long 0xD100003F, 0x013A7F61
.long 0x24800882
.long 0xD1FE003E, 0x020A0903
.long 0xD100003E, 0x013A7D61
.long 0xD1196A04, 0x00010500
.long 0xD0C9004A, 0x00003104
.long 0xD0C9004E, 0x00003301
.long 0x86CE4E4A
.long 0xD1FE0043, 0x020A0902
.long 0xD1000043, 0x013A8761
.long 0xE0501000, 0x80054643
.long 0x924A02FF, 0x00000100
.long 0xD1350044, 0x00009504
.long 0x24888882
.long 0xD1000044, 0x013A8961
.long 0x248A0882
.long 0xD1FE0043, 0x020A0903
.long 0xD1000043, 0x013A8761
.long 0xD1196A04, 0x00010700
.long 0xD0C9004A, 0x00003104
.long 0xD0C9004E, 0x00003301
.long 0x86CE4E4A
.long 0xD1FE0048, 0x020A0902
.long 0xD1000048, 0x013A9161
.long 0xE0501000, 0x80054B48
.long 0x924A02FF, 0x00000100
.long 0xD1350049, 0x00009504
.long 0x24929282
.long 0xD1000049, 0x013A9361
.long 0x24940882
.long 0xD1FE0048, 0x020A0903
.long 0xD1000048, 0x013A9161
	;; [unrolled: 58-line block ×3, first 2 shown]
.long 0xD3D8400F, 0x18000190
.long 0xD3D84016, 0x18000194
	;; [unrolled: 1-line block ×16, first 2 shown]
.long 0xBF800001
.long 0x0A1E1E2C
	;; [unrolled: 1-line block ×18, first 2 shown]
.long 0xD0CC0034, 0x00010042
.long 0xD100000E, 0x00D21CF2
.long 0x0A1E1F0E
.long 0xD13B000F, 0x00005B0C
.long 0x02081F0D
.long 0xBEC81E3E
.long 0x7E1E0304
.long 0xE0701000, 0x80040F09
.long 0xD0CC0034, 0x00010042
.long 0xD1000015, 0x00D22AF2
.long 0x0A2C2D15
.long 0xD13B0016, 0x00005B13
.long 0x02082D14
.long 0xBEC81E3E
.long 0x7E2C0304
.long 0xE0701000, 0x80041610
	;; [unrolled: 8-line block ×16, first 2 shown]
.long 0xBF800000
.long 0x7EC202FF, 0x80000000
.long 0xD1196A01, 0x00011B01
.long 0x924A8D26
.long 0xD1340002, 0x00009502
.long 0x924A8D24
.long 0xD1340003, 0x00009503
.long 0xD0C9004A, 0x00003100
.long 0xD0C9004E, 0x00003301
.long 0x86CE4E4A
.long 0xD1FE0009, 0x020A0102
.long 0xD1000009, 0x013A1361
.long 0xE0501000, 0x80050C09
.long 0x924A02FF, 0x00000100
.long 0xD135000A, 0x00009500
.long 0x24141482
.long 0xD100000A, 0x013A1561
.long 0xD86C0000, 0x0D00000A
.long 0x24160082
.long 0xE0501000, 0x80100E0B
.long 0xD1FE0009, 0x020A0103
.long 0xD1000009, 0x013A1361
.long 0xD1196A04, 0x00010300
.long 0xD0C9004A, 0x00003104
.long 0xD0C9004E, 0x00003301
.long 0x86CE4E4A
.long 0xD1FE0010, 0x020A0902
.long 0xD1000010, 0x013A2161
.long 0xE0501000, 0x80051310
.long 0x924A02FF, 0x00000100
.long 0xD1350011, 0x00009504
.long 0x24222282
.long 0xD1000011, 0x013A2361
.long 0xD86C0000, 0x14000011
.long 0x24240882
.long 0xE0501000, 0x80101512
.long 0xD1FE0010, 0x020A0903
.long 0xD1000010, 0x013A2161
	;; [unrolled: 16-line block ×4, first 2 shown]
.long 0xD1196A01, 0x00010301
.long 0xD1340002, 0x00004D02
.long 0xD1340003, 0x00004903
.long 0xD0C9004A, 0x00003100
.long 0xD0C9004E, 0x00003301
.long 0x86CE4E4A
.long 0xD1FE0025, 0x020A0102
.long 0xD1000025, 0x013A4B61
.long 0xE0501000, 0x80052825
.long 0x924A02FF, 0x00000100
.long 0xD1350026, 0x00009500
.long 0x244C4C82
.long 0xD1000026, 0x013A4D61
.long 0x244E0082
.long 0xD1FE0025, 0x020A0103
.long 0xD1000025, 0x013A4B61
.long 0xD1196A04, 0x00010300
.long 0xD0C9004A, 0x00003104
.long 0xD0C9004E, 0x00003301
.long 0x86CE4E4A
.long 0xD1FE002A, 0x020A0902
.long 0xD100002A, 0x013A5561
.long 0xE0501000, 0x80052D2A
.long 0x924A02FF, 0x00000100
.long 0xD135002B, 0x00009504
.long 0x24565682
.long 0xD100002B, 0x013A5761
.long 0x24580882
.long 0xD1FE002A, 0x020A0903
.long 0xD100002A, 0x013A5561
.long 0xD1196A04, 0x00010500
.long 0xD0C9004A, 0x00003104
.long 0xD0C9004E, 0x00003301
.long 0x86CE4E4A
.long 0xD1FE002F, 0x020A0902
.long 0xD100002F, 0x013A5F61
.long 0xE0501000, 0x8005322F
.long 0x924A02FF, 0x00000100
.long 0xD1350030, 0x00009504
.long 0x24606082
.long 0xD1000030, 0x013A6161
.long 0x24620882
.long 0xD1FE002F, 0x020A0903
.long 0xD100002F, 0x013A5F61
.long 0xD1196A04, 0x00010700
.long 0xD0C9004A, 0x00003104
.long 0xD0C9004E, 0x00003301
.long 0x86CE4E4A
.long 0xD1FE0034, 0x020A0902
.long 0xD1000034, 0x013A6961
.long 0xE0501000, 0x80053734
.long 0x924A02FF, 0x00000100
.long 0xD1350035, 0x00009504
.long 0x246A6A82
.long 0xD1000035, 0x013A6B61
.long 0x246C0882
.long 0xD1FE0034, 0x020A0903
.long 0xD1000034, 0x013A6961
.long 0xD1196A01, 0x00010301
.long 0xD1340002, 0x00004D02
.long 0xD1340003, 0x00004903
.long 0xD0C9004A, 0x00003100
.long 0xD0C9004E, 0x00003301
.long 0x86CE4E4A
.long 0xD1FE0039, 0x020A0102
.long 0xD1000039, 0x013A7361
.long 0xE0501000, 0x80053C39
.long 0x924A02FF, 0x00000100
.long 0xD135003A, 0x00009500
.long 0x24747482
.long 0xD100003A, 0x013A7561
.long 0x24760082
.long 0xD1FE0039, 0x020A0103
.long 0xD1000039, 0x013A7361
.long 0xD1196A04, 0x00010300
.long 0xD0C9004A, 0x00003104
.long 0xD0C9004E, 0x00003301
.long 0x86CE4E4A
.long 0xD1FE003E, 0x020A0902
.long 0xD100003E, 0x013A7D61
.long 0xE0501000, 0x8005413E
.long 0x924A02FF, 0x00000100
.long 0xD135003F, 0x00009504
.long 0x247E7E82
.long 0xD100003F, 0x013A7F61
.long 0x24800882
.long 0xD1FE003E, 0x020A0903
.long 0xD100003E, 0x013A7D61
.long 0xD1196A04, 0x00010500
.long 0xD0C9004A, 0x00003104
.long 0xD0C9004E, 0x00003301
.long 0x86CE4E4A
.long 0xD1FE0043, 0x020A0902
.long 0xD1000043, 0x013A8761
.long 0xE0501000, 0x80054643
.long 0x924A02FF, 0x00000100
.long 0xD1350044, 0x00009504
.long 0x24888882
.long 0xD1000044, 0x013A8961
.long 0x248A0882
.long 0xD1FE0043, 0x020A0903
.long 0xD1000043, 0x013A8761
.long 0xD1196A04, 0x00010700
.long 0xD0C9004A, 0x00003104
.long 0xD0C9004E, 0x00003301
.long 0x86CE4E4A
.long 0xD1FE0048, 0x020A0902
.long 0xD1000048, 0x013A9161
.long 0xE0501000, 0x80054B48
.long 0x924A02FF, 0x00000100
.long 0xD1350049, 0x00009504
.long 0x24929282
.long 0xD1000049, 0x013A9361
.long 0x24940882
.long 0xD1FE0048, 0x020A0903
.long 0xD1000048, 0x013A9161
	;; [unrolled: 58-line block ×3, first 2 shown]
.long 0xD3D8400F, 0x180001A0
.long 0xD3D84016, 0x180001A4
	;; [unrolled: 1-line block ×16, first 2 shown]
.long 0xBF800001
.long 0x0A1E1E2C
	;; [unrolled: 1-line block ×18, first 2 shown]
.long 0xD0CC0034, 0x00010042
.long 0xD100000E, 0x00D21CF2
.long 0x0A1E1F0E
.long 0xD13B000F, 0x00005B0C
.long 0x02081F0D
.long 0xBEC81E3E
.long 0x7E1E0304
.long 0xE0701000, 0x80040F09
.long 0xD0CC0034, 0x00010042
.long 0xD1000015, 0x00D22AF2
.long 0x0A2C2D15
.long 0xD13B0016, 0x00005B13
.long 0x02082D14
.long 0xBEC81E3E
.long 0x7E2C0304
.long 0xE0701000, 0x80041610
	;; [unrolled: 8-line block ×16, first 2 shown]
.long 0xBF800000
.long 0x7EC202FF, 0x80000000
.long 0xD1196A01, 0x00011B01
.long 0x924A8D26
.long 0xD1340002, 0x00009502
.long 0x924A8D24
.long 0xD1340003, 0x00009503
.long 0xD0C9004A, 0x00003100
.long 0xD0C9004E, 0x00003301
.long 0x86CE4E4A
.long 0xD1FE0009, 0x020A0102
.long 0xD1000009, 0x013A1361
.long 0xE0501000, 0x80050C09
.long 0x924A02FF, 0x00000100
.long 0xD135000A, 0x00009500
.long 0x24141482
.long 0xD100000A, 0x013A1561
.long 0xD86C0000, 0x0D00000A
.long 0x24160082
.long 0xE0501000, 0x80100E0B
.long 0xD1FE0009, 0x020A0103
.long 0xD1000009, 0x013A1361
.long 0xD1196A04, 0x00010300
.long 0xD0C9004A, 0x00003104
.long 0xD0C9004E, 0x00003301
.long 0x86CE4E4A
.long 0xD1FE0010, 0x020A0902
.long 0xD1000010, 0x013A2161
.long 0xE0501000, 0x80051310
.long 0x924A02FF, 0x00000100
.long 0xD1350011, 0x00009504
.long 0x24222282
.long 0xD1000011, 0x013A2361
.long 0xD86C0000, 0x14000011
.long 0x24240882
.long 0xE0501000, 0x80101512
.long 0xD1FE0010, 0x020A0903
.long 0xD1000010, 0x013A2161
	;; [unrolled: 16-line block ×4, first 2 shown]
.long 0xD1196A01, 0x00010301
.long 0xD1340002, 0x00004D02
.long 0xD1340003, 0x00004903
.long 0xD0C9004A, 0x00003100
.long 0xD0C9004E, 0x00003301
.long 0x86CE4E4A
.long 0xD1FE0025, 0x020A0102
.long 0xD1000025, 0x013A4B61
.long 0xE0501000, 0x80052825
.long 0x924A02FF, 0x00000100
.long 0xD1350026, 0x00009500
.long 0x244C4C82
.long 0xD1000026, 0x013A4D61
.long 0x244E0082
.long 0xD1FE0025, 0x020A0103
.long 0xD1000025, 0x013A4B61
.long 0xD1196A04, 0x00010300
.long 0xD0C9004A, 0x00003104
.long 0xD0C9004E, 0x00003301
.long 0x86CE4E4A
.long 0xD1FE002A, 0x020A0902
.long 0xD100002A, 0x013A5561
.long 0xE0501000, 0x80052D2A
.long 0x924A02FF, 0x00000100
.long 0xD135002B, 0x00009504
.long 0x24565682
.long 0xD100002B, 0x013A5761
.long 0x24580882
.long 0xD1FE002A, 0x020A0903
.long 0xD100002A, 0x013A5561
.long 0xD1196A04, 0x00010500
.long 0xD0C9004A, 0x00003104
.long 0xD0C9004E, 0x00003301
.long 0x86CE4E4A
.long 0xD1FE002F, 0x020A0902
.long 0xD100002F, 0x013A5F61
.long 0xE0501000, 0x8005322F
.long 0x924A02FF, 0x00000100
.long 0xD1350030, 0x00009504
.long 0x24606082
.long 0xD1000030, 0x013A6161
.long 0x24620882
.long 0xD1FE002F, 0x020A0903
.long 0xD100002F, 0x013A5F61
.long 0xD1196A04, 0x00010700
.long 0xD0C9004A, 0x00003104
.long 0xD0C9004E, 0x00003301
.long 0x86CE4E4A
.long 0xD1FE0034, 0x020A0902
.long 0xD1000034, 0x013A6961
.long 0xE0501000, 0x80053734
.long 0x924A02FF, 0x00000100
.long 0xD1350035, 0x00009504
.long 0x246A6A82
.long 0xD1000035, 0x013A6B61
.long 0x246C0882
.long 0xD1FE0034, 0x020A0903
.long 0xD1000034, 0x013A6961
.long 0xD1196A01, 0x00010301
.long 0xD1340002, 0x00004D02
.long 0xD1340003, 0x00004903
.long 0xD0C9004A, 0x00003100
.long 0xD0C9004E, 0x00003301
.long 0x86CE4E4A
.long 0xD1FE0039, 0x020A0102
.long 0xD1000039, 0x013A7361
.long 0xE0501000, 0x80053C39
.long 0x924A02FF, 0x00000100
.long 0xD135003A, 0x00009500
.long 0x24747482
.long 0xD100003A, 0x013A7561
.long 0x24760082
.long 0xD1FE0039, 0x020A0103
.long 0xD1000039, 0x013A7361
.long 0xD1196A04, 0x00010300
.long 0xD0C9004A, 0x00003104
.long 0xD0C9004E, 0x00003301
.long 0x86CE4E4A
.long 0xD1FE003E, 0x020A0902
.long 0xD100003E, 0x013A7D61
.long 0xE0501000, 0x8005413E
.long 0x924A02FF, 0x00000100
.long 0xD135003F, 0x00009504
.long 0x247E7E82
.long 0xD100003F, 0x013A7F61
.long 0x24800882
.long 0xD1FE003E, 0x020A0903
.long 0xD100003E, 0x013A7D61
.long 0xD1196A04, 0x00010500
.long 0xD0C9004A, 0x00003104
.long 0xD0C9004E, 0x00003301
.long 0x86CE4E4A
.long 0xD1FE0043, 0x020A0902
.long 0xD1000043, 0x013A8761
.long 0xE0501000, 0x80054643
.long 0x924A02FF, 0x00000100
.long 0xD1350044, 0x00009504
.long 0x24888882
.long 0xD1000044, 0x013A8961
.long 0x248A0882
.long 0xD1FE0043, 0x020A0903
.long 0xD1000043, 0x013A8761
.long 0xD1196A04, 0x00010700
.long 0xD0C9004A, 0x00003104
.long 0xD0C9004E, 0x00003301
.long 0x86CE4E4A
.long 0xD1FE0048, 0x020A0902
.long 0xD1000048, 0x013A9161
.long 0xE0501000, 0x80054B48
.long 0x924A02FF, 0x00000100
.long 0xD1350049, 0x00009504
.long 0x24929282
.long 0xD1000049, 0x013A9361
.long 0x24940882
.long 0xD1FE0048, 0x020A0903
.long 0xD1000048, 0x013A9161
	;; [unrolled: 58-line block ×3, first 2 shown]
.long 0xD3D8400F, 0x180001B0
.long 0xD3D84016, 0x180001B4
.long 0xD3D8401D, 0x180001B8
.long 0xD3D84024, 0x180001BC
.long 0xD3D84029, 0x180001B1
.long 0xD3D8402E, 0x180001B5
.long 0xD3D84033, 0x180001B9
.long 0xD3D84038, 0x180001BD
.long 0xD3D8403D, 0x180001B2
.long 0xD3D84042, 0x180001B6
.long 0xD3D84047, 0x180001BA
.long 0xD3D8404C, 0x180001BE
.long 0xD3D84051, 0x180001B3
.long 0xD3D84056, 0x180001B7
.long 0xD3D8405B, 0x180001BB
.long 0xD3D84060, 0x180001BF
.long 0xBF800001
.long 0x0A1E1E2C
	;; [unrolled: 1-line block ×18, first 2 shown]
.long 0xD0CC0034, 0x00010042
.long 0xD100000E, 0x00D21CF2
.long 0x0A1E1F0E
.long 0xD13B000F, 0x00005B0C
.long 0x02081F0D
.long 0xBEC81E3E
.long 0x7E1E0304
.long 0xE0701000, 0x80040F09
.long 0xD0CC0034, 0x00010042
.long 0xD1000015, 0x00D22AF2
.long 0x0A2C2D15
.long 0xD13B0016, 0x00005B13
.long 0x02082D14
.long 0xBEC81E3E
.long 0x7E2C0304
.long 0xE0701000, 0x80041610
	;; [unrolled: 8-line block ×16, first 2 shown]
.long 0xBF800000
.long 0x7EC202FF, 0x80000000
.long 0xD1196A01, 0x00011B01
.long 0x924A8D26
.long 0xD1340002, 0x00009502
.long 0x924A8D24
.long 0xD1340003, 0x00009503
.long 0xD0C9004A, 0x00003100
.long 0xD0C9004E, 0x00003301
.long 0x86CE4E4A
.long 0xD1FE0009, 0x020A0102
.long 0xD1000009, 0x013A1361
.long 0xE0501000, 0x80050C09
.long 0x924A02FF, 0x00000100
.long 0xD135000A, 0x00009500
.long 0x24141482
.long 0xD100000A, 0x013A1561
.long 0xD86C0000, 0x0D00000A
.long 0x24160082
.long 0xE0501000, 0x80100E0B
.long 0xD1FE0009, 0x020A0103
.long 0xD1000009, 0x013A1361
.long 0xD1196A04, 0x00010300
.long 0xD0C9004A, 0x00003104
.long 0xD0C9004E, 0x00003301
.long 0x86CE4E4A
.long 0xD1FE0010, 0x020A0902
.long 0xD1000010, 0x013A2161
.long 0xE0501000, 0x80051310
.long 0x924A02FF, 0x00000100
.long 0xD1350011, 0x00009504
.long 0x24222282
.long 0xD1000011, 0x013A2361
.long 0xD86C0000, 0x14000011
.long 0x24240882
.long 0xE0501000, 0x80101512
.long 0xD1FE0010, 0x020A0903
.long 0xD1000010, 0x013A2161
	;; [unrolled: 16-line block ×4, first 2 shown]
.long 0xD1196A01, 0x00010301
.long 0xD1340002, 0x00004D02
.long 0xD1340003, 0x00004903
.long 0xD0C9004A, 0x00003100
.long 0xD0C9004E, 0x00003301
.long 0x86CE4E4A
.long 0xD1FE0025, 0x020A0102
.long 0xD1000025, 0x013A4B61
.long 0xE0501000, 0x80052825
.long 0x924A02FF, 0x00000100
.long 0xD1350026, 0x00009500
.long 0x244C4C82
.long 0xD1000026, 0x013A4D61
.long 0x244E0082
.long 0xD1FE0025, 0x020A0103
.long 0xD1000025, 0x013A4B61
.long 0xD1196A04, 0x00010300
.long 0xD0C9004A, 0x00003104
.long 0xD0C9004E, 0x00003301
.long 0x86CE4E4A
.long 0xD1FE002A, 0x020A0902
.long 0xD100002A, 0x013A5561
.long 0xE0501000, 0x80052D2A
.long 0x924A02FF, 0x00000100
.long 0xD135002B, 0x00009504
.long 0x24565682
.long 0xD100002B, 0x013A5761
.long 0x24580882
.long 0xD1FE002A, 0x020A0903
.long 0xD100002A, 0x013A5561
.long 0xD1196A04, 0x00010500
.long 0xD0C9004A, 0x00003104
.long 0xD0C9004E, 0x00003301
.long 0x86CE4E4A
.long 0xD1FE002F, 0x020A0902
.long 0xD100002F, 0x013A5F61
.long 0xE0501000, 0x8005322F
.long 0x924A02FF, 0x00000100
.long 0xD1350030, 0x00009504
.long 0x24606082
.long 0xD1000030, 0x013A6161
.long 0x24620882
.long 0xD1FE002F, 0x020A0903
.long 0xD100002F, 0x013A5F61
.long 0xD1196A04, 0x00010700
.long 0xD0C9004A, 0x00003104
.long 0xD0C9004E, 0x00003301
.long 0x86CE4E4A
.long 0xD1FE0034, 0x020A0902
.long 0xD1000034, 0x013A6961
.long 0xE0501000, 0x80053734
.long 0x924A02FF, 0x00000100
.long 0xD1350035, 0x00009504
.long 0x246A6A82
.long 0xD1000035, 0x013A6B61
.long 0x246C0882
.long 0xD1FE0034, 0x020A0903
.long 0xD1000034, 0x013A6961
.long 0xD1196A01, 0x00010301
.long 0xD1340002, 0x00004D02
.long 0xD1340003, 0x00004903
.long 0xD0C9004A, 0x00003100
.long 0xD0C9004E, 0x00003301
.long 0x86CE4E4A
.long 0xD1FE0039, 0x020A0102
.long 0xD1000039, 0x013A7361
.long 0xE0501000, 0x80053C39
.long 0x924A02FF, 0x00000100
.long 0xD135003A, 0x00009500
.long 0x24747482
.long 0xD100003A, 0x013A7561
.long 0x24760082
.long 0xD1FE0039, 0x020A0103
.long 0xD1000039, 0x013A7361
.long 0xD1196A04, 0x00010300
.long 0xD0C9004A, 0x00003104
.long 0xD0C9004E, 0x00003301
.long 0x86CE4E4A
.long 0xD1FE003E, 0x020A0902
.long 0xD100003E, 0x013A7D61
.long 0xE0501000, 0x8005413E
.long 0x924A02FF, 0x00000100
.long 0xD135003F, 0x00009504
.long 0x247E7E82
.long 0xD100003F, 0x013A7F61
.long 0x24800882
.long 0xD1FE003E, 0x020A0903
.long 0xD100003E, 0x013A7D61
.long 0xD1196A04, 0x00010500
.long 0xD0C9004A, 0x00003104
.long 0xD0C9004E, 0x00003301
.long 0x86CE4E4A
.long 0xD1FE0043, 0x020A0902
.long 0xD1000043, 0x013A8761
.long 0xE0501000, 0x80054643
.long 0x924A02FF, 0x00000100
.long 0xD1350044, 0x00009504
.long 0x24888882
.long 0xD1000044, 0x013A8961
.long 0x248A0882
.long 0xD1FE0043, 0x020A0903
.long 0xD1000043, 0x013A8761
.long 0xD1196A04, 0x00010700
.long 0xD0C9004A, 0x00003104
.long 0xD0C9004E, 0x00003301
.long 0x86CE4E4A
.long 0xD1FE0048, 0x020A0902
.long 0xD1000048, 0x013A9161
.long 0xE0501000, 0x80054B48
.long 0x924A02FF, 0x00000100
.long 0xD1350049, 0x00009504
.long 0x24929282
.long 0xD1000049, 0x013A9361
.long 0x24940882
.long 0xD1FE0048, 0x020A0903
.long 0xD1000048, 0x013A9161
	;; [unrolled: 58-line block ×3, first 2 shown]
.long 0xD3D8400F, 0x180001C0
.long 0xD3D84016, 0x180001C4
	;; [unrolled: 1-line block ×16, first 2 shown]
.long 0xBF800001
.long 0x0A1E1E2C
	;; [unrolled: 1-line block ×18, first 2 shown]
.long 0xD0CC0034, 0x00010042
.long 0xD100000E, 0x00D21CF2
.long 0x0A1E1F0E
.long 0xD13B000F, 0x00005B0C
.long 0x02081F0D
.long 0xBEC81E3E
.long 0x7E1E0304
.long 0xE0701000, 0x80040F09
.long 0xD0CC0034, 0x00010042
.long 0xD1000015, 0x00D22AF2
.long 0x0A2C2D15
.long 0xD13B0016, 0x00005B13
.long 0x02082D14
.long 0xBEC81E3E
.long 0x7E2C0304
.long 0xE0701000, 0x80041610
	;; [unrolled: 8-line block ×16, first 2 shown]
.long 0xBF800000
.long 0x7EC202FF, 0x80000000
.long 0xD1196A01, 0x00011B01
.long 0x924A8D26
.long 0xD1340002, 0x00009502
.long 0x924A8D24
.long 0xD1340003, 0x00009503
.long 0xD0C9004A, 0x00003100
.long 0xD0C9004E, 0x00003301
.long 0x86CE4E4A
.long 0xD1FE0009, 0x020A0102
.long 0xD1000009, 0x013A1361
.long 0xE0501000, 0x80050C09
.long 0x924A02FF, 0x00000100
.long 0xD135000A, 0x00009500
.long 0x24141482
.long 0xD100000A, 0x013A1561
.long 0xD86C0000, 0x0D00000A
.long 0x24160082
.long 0xE0501000, 0x80100E0B
.long 0xD1FE0009, 0x020A0103
.long 0xD1000009, 0x013A1361
.long 0xD1196A04, 0x00010300
.long 0xD0C9004A, 0x00003104
.long 0xD0C9004E, 0x00003301
.long 0x86CE4E4A
.long 0xD1FE0010, 0x020A0902
.long 0xD1000010, 0x013A2161
.long 0xE0501000, 0x80051310
.long 0x924A02FF, 0x00000100
.long 0xD1350011, 0x00009504
.long 0x24222282
.long 0xD1000011, 0x013A2361
.long 0xD86C0000, 0x14000011
.long 0x24240882
.long 0xE0501000, 0x80101512
.long 0xD1FE0010, 0x020A0903
.long 0xD1000010, 0x013A2161
	;; [unrolled: 16-line block ×4, first 2 shown]
.long 0xD1196A01, 0x00010301
.long 0xD1340002, 0x00004D02
.long 0xD1340003, 0x00004903
.long 0xD0C9004A, 0x00003100
.long 0xD0C9004E, 0x00003301
.long 0x86CE4E4A
.long 0xD1FE0025, 0x020A0102
.long 0xD1000025, 0x013A4B61
.long 0xE0501000, 0x80052825
.long 0x924A02FF, 0x00000100
.long 0xD1350026, 0x00009500
.long 0x244C4C82
.long 0xD1000026, 0x013A4D61
.long 0x244E0082
.long 0xD1FE0025, 0x020A0103
.long 0xD1000025, 0x013A4B61
.long 0xD1196A04, 0x00010300
.long 0xD0C9004A, 0x00003104
.long 0xD0C9004E, 0x00003301
.long 0x86CE4E4A
.long 0xD1FE002A, 0x020A0902
.long 0xD100002A, 0x013A5561
.long 0xE0501000, 0x80052D2A
.long 0x924A02FF, 0x00000100
.long 0xD135002B, 0x00009504
.long 0x24565682
.long 0xD100002B, 0x013A5761
.long 0x24580882
.long 0xD1FE002A, 0x020A0903
.long 0xD100002A, 0x013A5561
.long 0xD1196A04, 0x00010500
.long 0xD0C9004A, 0x00003104
.long 0xD0C9004E, 0x00003301
.long 0x86CE4E4A
.long 0xD1FE002F, 0x020A0902
.long 0xD100002F, 0x013A5F61
.long 0xE0501000, 0x8005322F
.long 0x924A02FF, 0x00000100
.long 0xD1350030, 0x00009504
.long 0x24606082
.long 0xD1000030, 0x013A6161
.long 0x24620882
.long 0xD1FE002F, 0x020A0903
.long 0xD100002F, 0x013A5F61
.long 0xD1196A04, 0x00010700
.long 0xD0C9004A, 0x00003104
.long 0xD0C9004E, 0x00003301
.long 0x86CE4E4A
.long 0xD1FE0034, 0x020A0902
.long 0xD1000034, 0x013A6961
.long 0xE0501000, 0x80053734
.long 0x924A02FF, 0x00000100
.long 0xD1350035, 0x00009504
.long 0x246A6A82
.long 0xD1000035, 0x013A6B61
.long 0x246C0882
.long 0xD1FE0034, 0x020A0903
.long 0xD1000034, 0x013A6961
.long 0xD1196A01, 0x00010301
.long 0xD1340002, 0x00004D02
.long 0xD1340003, 0x00004903
.long 0xD0C9004A, 0x00003100
.long 0xD0C9004E, 0x00003301
.long 0x86CE4E4A
.long 0xD1FE0039, 0x020A0102
.long 0xD1000039, 0x013A7361
.long 0xE0501000, 0x80053C39
.long 0x924A02FF, 0x00000100
.long 0xD135003A, 0x00009500
.long 0x24747482
.long 0xD100003A, 0x013A7561
.long 0x24760082
.long 0xD1FE0039, 0x020A0103
.long 0xD1000039, 0x013A7361
.long 0xD1196A04, 0x00010300
.long 0xD0C9004A, 0x00003104
.long 0xD0C9004E, 0x00003301
.long 0x86CE4E4A
.long 0xD1FE003E, 0x020A0902
.long 0xD100003E, 0x013A7D61
.long 0xE0501000, 0x8005413E
.long 0x924A02FF, 0x00000100
.long 0xD135003F, 0x00009504
.long 0x247E7E82
.long 0xD100003F, 0x013A7F61
.long 0x24800882
.long 0xD1FE003E, 0x020A0903
.long 0xD100003E, 0x013A7D61
.long 0xD1196A04, 0x00010500
.long 0xD0C9004A, 0x00003104
.long 0xD0C9004E, 0x00003301
.long 0x86CE4E4A
.long 0xD1FE0043, 0x020A0902
.long 0xD1000043, 0x013A8761
.long 0xE0501000, 0x80054643
.long 0x924A02FF, 0x00000100
.long 0xD1350044, 0x00009504
.long 0x24888882
.long 0xD1000044, 0x013A8961
.long 0x248A0882
.long 0xD1FE0043, 0x020A0903
.long 0xD1000043, 0x013A8761
.long 0xD1196A04, 0x00010700
.long 0xD0C9004A, 0x00003104
.long 0xD0C9004E, 0x00003301
.long 0x86CE4E4A
.long 0xD1FE0048, 0x020A0902
.long 0xD1000048, 0x013A9161
.long 0xE0501000, 0x80054B48
.long 0x924A02FF, 0x00000100
.long 0xD1350049, 0x00009504
.long 0x24929282
.long 0xD1000049, 0x013A9361
.long 0x24940882
.long 0xD1FE0048, 0x020A0903
.long 0xD1000048, 0x013A9161
	;; [unrolled: 58-line block ×3, first 2 shown]
.long 0xD3D8400F, 0x180001D0
.long 0xD3D84016, 0x180001D4
	;; [unrolled: 1-line block ×16, first 2 shown]
.long 0xBF800001
.long 0x0A1E1E2C
	;; [unrolled: 1-line block ×18, first 2 shown]
.long 0xD0CC0034, 0x00010042
.long 0xD100000E, 0x00D21CF2
.long 0x0A1E1F0E
.long 0xD13B000F, 0x00005B0C
.long 0x02081F0D
.long 0xBEC81E3E
.long 0x7E1E0304
.long 0xE0701000, 0x80040F09
.long 0xD0CC0034, 0x00010042
.long 0xD1000015, 0x00D22AF2
.long 0x0A2C2D15
.long 0xD13B0016, 0x00005B13
.long 0x02082D14
.long 0xBEC81E3E
.long 0x7E2C0304
.long 0xE0701000, 0x80041610
	;; [unrolled: 8-line block ×16, first 2 shown]
.long 0xBF800000
.long 0x7EC202FF, 0x80000000
.long 0xD1196A01, 0x00011B01
.long 0x924A8D26
.long 0xD1340002, 0x00009502
.long 0x924A8D24
.long 0xD1340003, 0x00009503
.long 0xD0C9004A, 0x00003100
.long 0xD0C9004E, 0x00003301
.long 0x86CE4E4A
.long 0xD1FE0009, 0x020A0102
.long 0xD1000009, 0x013A1361
.long 0xE0501000, 0x80050C09
.long 0x924A02FF, 0x00000100
.long 0xD135000A, 0x00009500
.long 0x24141482
.long 0xD100000A, 0x013A1561
.long 0xD86C0000, 0x0D00000A
.long 0x24160082
.long 0xE0501000, 0x80100E0B
.long 0xD1FE0009, 0x020A0103
.long 0xD1000009, 0x013A1361
.long 0xD1196A04, 0x00010300
.long 0xD0C9004A, 0x00003104
.long 0xD0C9004E, 0x00003301
.long 0x86CE4E4A
.long 0xD1FE0010, 0x020A0902
.long 0xD1000010, 0x013A2161
.long 0xE0501000, 0x80051310
.long 0x924A02FF, 0x00000100
.long 0xD1350011, 0x00009504
.long 0x24222282
.long 0xD1000011, 0x013A2361
.long 0xD86C0000, 0x14000011
.long 0x24240882
.long 0xE0501000, 0x80101512
.long 0xD1FE0010, 0x020A0903
.long 0xD1000010, 0x013A2161
	;; [unrolled: 16-line block ×4, first 2 shown]
.long 0xD1196A01, 0x00010301
.long 0xD1340002, 0x00004D02
.long 0xD1340003, 0x00004903
.long 0xD0C9004A, 0x00003100
.long 0xD0C9004E, 0x00003301
.long 0x86CE4E4A
.long 0xD1FE0025, 0x020A0102
.long 0xD1000025, 0x013A4B61
.long 0xE0501000, 0x80052825
.long 0x924A02FF, 0x00000100
.long 0xD1350026, 0x00009500
.long 0x244C4C82
.long 0xD1000026, 0x013A4D61
.long 0x244E0082
.long 0xD1FE0025, 0x020A0103
.long 0xD1000025, 0x013A4B61
.long 0xD1196A04, 0x00010300
.long 0xD0C9004A, 0x00003104
.long 0xD0C9004E, 0x00003301
.long 0x86CE4E4A
.long 0xD1FE002A, 0x020A0902
.long 0xD100002A, 0x013A5561
.long 0xE0501000, 0x80052D2A
.long 0x924A02FF, 0x00000100
.long 0xD135002B, 0x00009504
.long 0x24565682
.long 0xD100002B, 0x013A5761
.long 0x24580882
.long 0xD1FE002A, 0x020A0903
.long 0xD100002A, 0x013A5561
.long 0xD1196A04, 0x00010500
.long 0xD0C9004A, 0x00003104
.long 0xD0C9004E, 0x00003301
.long 0x86CE4E4A
.long 0xD1FE002F, 0x020A0902
.long 0xD100002F, 0x013A5F61
.long 0xE0501000, 0x8005322F
.long 0x924A02FF, 0x00000100
.long 0xD1350030, 0x00009504
.long 0x24606082
.long 0xD1000030, 0x013A6161
.long 0x24620882
.long 0xD1FE002F, 0x020A0903
.long 0xD100002F, 0x013A5F61
.long 0xD1196A04, 0x00010700
.long 0xD0C9004A, 0x00003104
.long 0xD0C9004E, 0x00003301
.long 0x86CE4E4A
.long 0xD1FE0034, 0x020A0902
.long 0xD1000034, 0x013A6961
.long 0xE0501000, 0x80053734
.long 0x924A02FF, 0x00000100
.long 0xD1350035, 0x00009504
.long 0x246A6A82
.long 0xD1000035, 0x013A6B61
.long 0x246C0882
.long 0xD1FE0034, 0x020A0903
.long 0xD1000034, 0x013A6961
.long 0xD1196A01, 0x00010301
.long 0xD1340002, 0x00004D02
.long 0xD1340003, 0x00004903
.long 0xD0C9004A, 0x00003100
.long 0xD0C9004E, 0x00003301
.long 0x86CE4E4A
.long 0xD1FE0039, 0x020A0102
.long 0xD1000039, 0x013A7361
.long 0xE0501000, 0x80053C39
.long 0x924A02FF, 0x00000100
.long 0xD135003A, 0x00009500
.long 0x24747482
.long 0xD100003A, 0x013A7561
.long 0x24760082
.long 0xD1FE0039, 0x020A0103
.long 0xD1000039, 0x013A7361
.long 0xD1196A04, 0x00010300
.long 0xD0C9004A, 0x00003104
.long 0xD0C9004E, 0x00003301
.long 0x86CE4E4A
.long 0xD1FE003E, 0x020A0902
.long 0xD100003E, 0x013A7D61
.long 0xE0501000, 0x8005413E
.long 0x924A02FF, 0x00000100
.long 0xD135003F, 0x00009504
.long 0x247E7E82
.long 0xD100003F, 0x013A7F61
.long 0x24800882
.long 0xD1FE003E, 0x020A0903
.long 0xD100003E, 0x013A7D61
.long 0xD1196A04, 0x00010500
.long 0xD0C9004A, 0x00003104
.long 0xD0C9004E, 0x00003301
.long 0x86CE4E4A
.long 0xD1FE0043, 0x020A0902
.long 0xD1000043, 0x013A8761
.long 0xE0501000, 0x80054643
.long 0x924A02FF, 0x00000100
.long 0xD1350044, 0x00009504
.long 0x24888882
.long 0xD1000044, 0x013A8961
.long 0x248A0882
.long 0xD1FE0043, 0x020A0903
.long 0xD1000043, 0x013A8761
.long 0xD1196A04, 0x00010700
.long 0xD0C9004A, 0x00003104
.long 0xD0C9004E, 0x00003301
.long 0x86CE4E4A
.long 0xD1FE0048, 0x020A0902
.long 0xD1000048, 0x013A9161
.long 0xE0501000, 0x80054B48
.long 0x924A02FF, 0x00000100
.long 0xD1350049, 0x00009504
.long 0x24929282
.long 0xD1000049, 0x013A9361
.long 0x24940882
.long 0xD1FE0048, 0x020A0903
.long 0xD1000048, 0x013A9161
	;; [unrolled: 58-line block ×3, first 2 shown]
.long 0xD3D8400F, 0x180001E0
.long 0xD3D84016, 0x180001E4
	;; [unrolled: 1-line block ×16, first 2 shown]
.long 0xBF800001
.long 0x0A1E1E2C
	;; [unrolled: 1-line block ×18, first 2 shown]
.long 0xD0CC0034, 0x00010042
.long 0xD100000E, 0x00D21CF2
.long 0x0A1E1F0E
.long 0xD13B000F, 0x00005B0C
.long 0x02081F0D
.long 0xBEC81E3E
.long 0x7E1E0304
.long 0xE0701000, 0x80040F09
.long 0xD0CC0034, 0x00010042
.long 0xD1000015, 0x00D22AF2
.long 0x0A2C2D15
.long 0xD13B0016, 0x00005B13
.long 0x02082D14
.long 0xBEC81E3E
.long 0x7E2C0304
.long 0xE0701000, 0x80041610
	;; [unrolled: 8-line block ×16, first 2 shown]
.long 0xBF800000
.long 0x7EC202FF, 0x80000000
.long 0xD1196A01, 0x00011B01
.long 0x924A8D26
.long 0xD1340002, 0x00009502
.long 0x924A8D24
.long 0xD1340003, 0x00009503
.long 0xD0C9004A, 0x00003100
.long 0xD0C9004E, 0x00003301
.long 0x86CE4E4A
.long 0xD1FE0009, 0x020A0102
.long 0xD1000009, 0x013A1361
.long 0xE0501000, 0x80050C09
.long 0x924A02FF, 0x00000100
.long 0xD135000A, 0x00009500
.long 0x24141482
.long 0xD100000A, 0x013A1561
.long 0xD86C0000, 0x0D00000A
.long 0x24160082
.long 0xE0501000, 0x80100E0B
.long 0xD1FE0009, 0x020A0103
.long 0xD1000009, 0x013A1361
.long 0xD1196A04, 0x00010300
.long 0xD0C9004A, 0x00003104
.long 0xD0C9004E, 0x00003301
.long 0x86CE4E4A
.long 0xD1FE0010, 0x020A0902
.long 0xD1000010, 0x013A2161
.long 0xE0501000, 0x80051310
.long 0x924A02FF, 0x00000100
.long 0xD1350011, 0x00009504
.long 0x24222282
.long 0xD1000011, 0x013A2361
.long 0xD86C0000, 0x14000011
.long 0x24240882
.long 0xE0501000, 0x80101512
.long 0xD1FE0010, 0x020A0903
.long 0xD1000010, 0x013A2161
	;; [unrolled: 16-line block ×4, first 2 shown]
.long 0xD1196A01, 0x00010301
.long 0xD1340002, 0x00004D02
.long 0xD1340003, 0x00004903
.long 0xD0C9004A, 0x00003100
.long 0xD0C9004E, 0x00003301
.long 0x86CE4E4A
.long 0xD1FE0025, 0x020A0102
.long 0xD1000025, 0x013A4B61
.long 0xE0501000, 0x80052825
.long 0x924A02FF, 0x00000100
.long 0xD1350026, 0x00009500
.long 0x244C4C82
.long 0xD1000026, 0x013A4D61
.long 0x244E0082
.long 0xD1FE0025, 0x020A0103
.long 0xD1000025, 0x013A4B61
.long 0xD1196A04, 0x00010300
.long 0xD0C9004A, 0x00003104
.long 0xD0C9004E, 0x00003301
.long 0x86CE4E4A
.long 0xD1FE002A, 0x020A0902
.long 0xD100002A, 0x013A5561
.long 0xE0501000, 0x80052D2A
.long 0x924A02FF, 0x00000100
.long 0xD135002B, 0x00009504
.long 0x24565682
.long 0xD100002B, 0x013A5761
.long 0x24580882
.long 0xD1FE002A, 0x020A0903
.long 0xD100002A, 0x013A5561
.long 0xD1196A04, 0x00010500
.long 0xD0C9004A, 0x00003104
.long 0xD0C9004E, 0x00003301
.long 0x86CE4E4A
.long 0xD1FE002F, 0x020A0902
.long 0xD100002F, 0x013A5F61
.long 0xE0501000, 0x8005322F
.long 0x924A02FF, 0x00000100
.long 0xD1350030, 0x00009504
.long 0x24606082
.long 0xD1000030, 0x013A6161
.long 0x24620882
.long 0xD1FE002F, 0x020A0903
.long 0xD100002F, 0x013A5F61
.long 0xD1196A04, 0x00010700
.long 0xD0C9004A, 0x00003104
.long 0xD0C9004E, 0x00003301
.long 0x86CE4E4A
.long 0xD1FE0034, 0x020A0902
.long 0xD1000034, 0x013A6961
.long 0xE0501000, 0x80053734
.long 0x924A02FF, 0x00000100
.long 0xD1350035, 0x00009504
.long 0x246A6A82
.long 0xD1000035, 0x013A6B61
.long 0x246C0882
.long 0xD1FE0034, 0x020A0903
.long 0xD1000034, 0x013A6961
.long 0xD1196A01, 0x00010301
.long 0xD1340002, 0x00004D02
.long 0xD1340003, 0x00004903
.long 0xD0C9004A, 0x00003100
.long 0xD0C9004E, 0x00003301
.long 0x86CE4E4A
.long 0xD1FE0039, 0x020A0102
.long 0xD1000039, 0x013A7361
.long 0xE0501000, 0x80053C39
.long 0x924A02FF, 0x00000100
.long 0xD135003A, 0x00009500
.long 0x24747482
.long 0xD100003A, 0x013A7561
.long 0x24760082
.long 0xD1FE0039, 0x020A0103
.long 0xD1000039, 0x013A7361
.long 0xD1196A04, 0x00010300
.long 0xD0C9004A, 0x00003104
.long 0xD0C9004E, 0x00003301
.long 0x86CE4E4A
.long 0xD1FE003E, 0x020A0902
.long 0xD100003E, 0x013A7D61
.long 0xE0501000, 0x8005413E
.long 0x924A02FF, 0x00000100
.long 0xD135003F, 0x00009504
.long 0x247E7E82
.long 0xD100003F, 0x013A7F61
.long 0x24800882
.long 0xD1FE003E, 0x020A0903
.long 0xD100003E, 0x013A7D61
.long 0xD1196A04, 0x00010500
.long 0xD0C9004A, 0x00003104
.long 0xD0C9004E, 0x00003301
.long 0x86CE4E4A
.long 0xD1FE0043, 0x020A0902
.long 0xD1000043, 0x013A8761
.long 0xE0501000, 0x80054643
.long 0x924A02FF, 0x00000100
.long 0xD1350044, 0x00009504
.long 0x24888882
.long 0xD1000044, 0x013A8961
.long 0x248A0882
.long 0xD1FE0043, 0x020A0903
.long 0xD1000043, 0x013A8761
.long 0xD1196A04, 0x00010700
.long 0xD0C9004A, 0x00003104
.long 0xD0C9004E, 0x00003301
.long 0x86CE4E4A
.long 0xD1FE0048, 0x020A0902
.long 0xD1000048, 0x013A9161
.long 0xE0501000, 0x80054B48
.long 0x924A02FF, 0x00000100
.long 0xD1350049, 0x00009504
.long 0x24929282
.long 0xD1000049, 0x013A9361
.long 0x24940882
.long 0xD1FE0048, 0x020A0903
.long 0xD1000048, 0x013A9161
	;; [unrolled: 58-line block ×3, first 2 shown]
.long 0xD3D8400F, 0x180001F0
.long 0xD3D84016, 0x180001F4
	;; [unrolled: 1-line block ×16, first 2 shown]
.long 0xBF800001
.long 0x0A1E1E2C
	;; [unrolled: 1-line block ×18, first 2 shown]
.long 0xD0CC0034, 0x00010042
.long 0xD100000E, 0x00D21CF2
.long 0x0A1E1F0E
.long 0xD13B000F, 0x00005B0C
.long 0x02081F0D
.long 0xBEC81E3E
.long 0x7E1E0304
.long 0xE0701000, 0x80040F09
.long 0xD0CC0034, 0x00010042
.long 0xD1000015, 0x00D22AF2
.long 0x0A2C2D15
.long 0xD13B0016, 0x00005B13
.long 0x02082D14
.long 0xBEC81E3E
.long 0x7E2C0304
.long 0xE0701000, 0x80041610
	;; [unrolled: 8-line block ×16, first 2 shown]
.long 0xBF800000
.long 0xBF82014D
	;; [unrolled: 1-line block ×3, first 2 shown]
.long 0x260808FF, 0x7FFFFFFF
.long 0x260A0AFF, 0x7FFFFFFF
	;; [unrolled: 1-line block ×4, first 2 shown]
.long 0xBE801D48
.long 0xD044006A, 0x00007504
.long 0x1408083B
.long 0x00080880
.long 0xD044006A, 0x00007505
.long 0x140A0A3B
	;; [unrolled: 3-line block ×4, first 2 shown]
.long 0x000E0E80
.long 0xBE801D48
.long 0x0A1008FF, 0x3D372713
.long 0xD1CB0008, 0x03CA1104
.long 0x0A101104
.long 0x0A1010FF, 0x40135761
.long 0x7E104108
.long 0xBF800000
.long 0x021010F2
.long 0x7E104508
.long 0xBF800000
.long 0xD1CB0008, 0x03D210F5
.long 0x0A101104
.long 0x0A0810F0
.long 0x0A100AFF, 0x3D372713
.long 0xD1CB0008, 0x03CA1105
.long 0x0A101105
.long 0x0A1010FF, 0x40135761
.long 0x7E104108
.long 0xBF800000
.long 0x021010F2
.long 0x7E104508
.long 0xBF800000
.long 0xD1CB0008, 0x03D210F5
	;; [unrolled: 12-line block ×4, first 2 shown]
.long 0x0A101107
.long 0x0A0E10F0
	;; [unrolled: 1-line block ×4, first 2 shown]
.long 0xD046006A, 0x00010104
.long 0x00080908
.long 0x0A100A3A
.long 0xD046006A, 0x00010105
.long 0x000A0B08
.long 0x0A100C3A
	;; [unrolled: 3-line block ×4, first 2 shown]
.long 0xD10B0004, 0x00010104
.long 0xD10B0005, 0x00010105
.long 0xD10B0006, 0x00010106
.long 0xD10B0007, 0x00010107
.long 0xBE801D48
.long 0x0A0808FF, 0xBFB8AA3B
.long 0x7E084104
.long 0xBF800000
.long 0x020808F2
.long 0x7E084504
.long 0xBF800000
.long 0x0A0A0AFF, 0xBFB8AA3B
.long 0x7E0A4105
.long 0xBF800000
.long 0x020A0AF2
.long 0x7E0A4505
.long 0xBF800000
.long 0x0A0C0CFF, 0xBFB8AA3B
.long 0x7E0C4106
.long 0xBF800000
.long 0x020C0CF2
.long 0x7E0C4506
.long 0xBF800000
.long 0x0A0E0EFF, 0xBFB8AA3B
.long 0x7E0E4107
.long 0xBF800000
.long 0x020E0EF2
.long 0x7E0E4507
.long 0xBF800000
.long 0xBE801D48
	;; [unrolled: 1-line block ×3, first 2 shown]
.long 0x0A0808FF, 0x4038AA3B
.long 0x7E084104
.long 0xBF800000
.long 0x020808F2
.long 0x7E084504
.long 0xBF800000
.long 0xD1CB0004, 0x03CA08F5
.long 0x0A08083B
.long 0x0A0A0A3A
.long 0x0A0A0AFF, 0x4038AA3B
.long 0x7E0A4105
.long 0xBF800000
.long 0x020A0AF2
.long 0x7E0A4505
.long 0xBF800000
.long 0xD1CB0005, 0x03CA0AF5
.long 0x0A0A0A3B
.long 0x0A0C0C3A
	;; [unrolled: 9-line block ×4, first 2 shown]
.long 0x0A1008FF, 0x3D372713
.long 0xD1CB0008, 0x03CA1104
.long 0x0A101104
.long 0x0A1010FF, 0x40135761
.long 0x7E104108
.long 0xBF800000
.long 0x021010F2
.long 0x7E104508
.long 0xBF800000
.long 0xD1CB0008, 0x03D210F5
.long 0x0A101104
.long 0x0A1010F0
.long 0x0A08103A
.long 0x0A100AFF, 0x3D372713
.long 0xD1CB0008, 0x03CA1105
.long 0x0A101105
.long 0x0A1010FF, 0x40135761
.long 0x7E104108
.long 0xBF800000
.long 0x021010F2
.long 0x7E104508
.long 0xBF800000
.long 0xD1CB0008, 0x03D210F5
.long 0x0A101105
.long 0x0A1010F0
.long 0x0A0A103A
	;; [unrolled: 13-line block ×4, first 2 shown]
.long 0xBE801D48
.long 0xBE801D48
.long 0x260808FF, 0x7FFFFFFF
.long 0xBE801D48
.long 0xD044006A, 0x00007504
.long 0x1408083B
.long 0x00080880
	;; [unrolled: 1-line block ×3, first 2 shown]
.long 0x0A1008FF, 0x3D372713
.long 0xD1CB0008, 0x03CA1104
.long 0x0A101104
.long 0x0A1010FF, 0x40135761
.long 0x7E104108
.long 0xBF800000
.long 0x021010F2
.long 0x7E104508
.long 0xBF800000
.long 0xD1CB0008, 0x03D210F5
.long 0x0A101104
.long 0x0A0810F0
	;; [unrolled: 1-line block ×4, first 2 shown]
.long 0xD046006A, 0x00010104
.long 0x00080908
.long 0xBE801D48
.long 0xD10B0004, 0x00010104
.long 0xBE801D48
.long 0x0A0808FF, 0xBFB8AA3B
.long 0x7E084104
.long 0xBF800000
	;; [unrolled: 1-line block ×7, first 2 shown]
.long 0x0A0808FF, 0x4038AA3B
.long 0x7E084104
.long 0xBF800000
	;; [unrolled: 1-line block ×5, first 2 shown]
.long 0xD1CB0004, 0x03CA08F5
.long 0x0A08083B
.long 0xBE801D48
.long 0x0A1008FF, 0x3D372713
.long 0xD1CB0008, 0x03CA1104
.long 0x0A101104
.long 0x0A1010FF, 0x40135761
.long 0x7E104108
.long 0xBF800000
	;; [unrolled: 1-line block ×5, first 2 shown]
.long 0xD1CB0008, 0x03D210F5
.long 0x0A101104
.long 0x0A1010F0
	;; [unrolled: 1-line block ×5, first 2 shown]
